;; amdgpu-corpus repo=ROCm/rocFFT kind=compiled arch=gfx1030 opt=O3
	.text
	.amdgcn_target "amdgcn-amd-amdhsa--gfx1030"
	.amdhsa_code_object_version 6
	.protected	fft_rtc_fwd_len1694_factors_11_2_11_7_wgs_154_tpt_154_halfLds_dp_op_CI_CI_sbrr_dirReg ; -- Begin function fft_rtc_fwd_len1694_factors_11_2_11_7_wgs_154_tpt_154_halfLds_dp_op_CI_CI_sbrr_dirReg
	.globl	fft_rtc_fwd_len1694_factors_11_2_11_7_wgs_154_tpt_154_halfLds_dp_op_CI_CI_sbrr_dirReg
	.p2align	8
	.type	fft_rtc_fwd_len1694_factors_11_2_11_7_wgs_154_tpt_154_halfLds_dp_op_CI_CI_sbrr_dirReg,@function
fft_rtc_fwd_len1694_factors_11_2_11_7_wgs_154_tpt_154_halfLds_dp_op_CI_CI_sbrr_dirReg: ; @fft_rtc_fwd_len1694_factors_11_2_11_7_wgs_154_tpt_154_halfLds_dp_op_CI_CI_sbrr_dirReg
; %bb.0:
	s_clause 0x2
	s_load_dwordx4 s[16:19], s[4:5], 0x18
	s_load_dwordx4 s[8:11], s[4:5], 0x0
	;; [unrolled: 1-line block ×3, first 2 shown]
	v_mul_u32_u24_e32 v2, 0x1aa, v0
	v_mov_b32_e32 v1, 0
	v_mov_b32_e32 v4, 0
	;; [unrolled: 1-line block ×3, first 2 shown]
	s_waitcnt lgkmcnt(0)
	s_load_dwordx2 s[20:21], s[16:17], 0x0
	s_load_dwordx2 s[2:3], s[18:19], 0x0
	v_cmp_lt_u64_e64 s0, s[10:11], 2
	v_add_nc_u32_sdwa v6, s6, v2 dst_sel:DWORD dst_unused:UNUSED_PAD src0_sel:DWORD src1_sel:WORD_1
	v_mov_b32_e32 v7, v1
	s_and_b32 vcc_lo, exec_lo, s0
	s_cbranch_vccnz .LBB0_8
; %bb.1:
	s_load_dwordx2 s[0:1], s[4:5], 0x10
	v_mov_b32_e32 v4, 0
	v_mov_b32_e32 v5, 0
	s_add_u32 s6, s18, 8
	s_addc_u32 s7, s19, 0
	s_add_u32 s22, s16, 8
	s_addc_u32 s23, s17, 0
	v_mov_b32_e32 v53, v5
	v_mov_b32_e32 v52, v4
	s_mov_b64 s[26:27], 1
	s_waitcnt lgkmcnt(0)
	s_add_u32 s24, s0, 8
	s_addc_u32 s25, s1, 0
.LBB0_2:                                ; =>This Inner Loop Header: Depth=1
	s_load_dwordx2 s[28:29], s[24:25], 0x0
                                        ; implicit-def: $vgpr54_vgpr55
	s_mov_b32 s0, exec_lo
	s_waitcnt lgkmcnt(0)
	v_or_b32_e32 v2, s29, v7
	v_cmpx_ne_u64_e32 0, v[1:2]
	s_xor_b32 s1, exec_lo, s0
	s_cbranch_execz .LBB0_4
; %bb.3:                                ;   in Loop: Header=BB0_2 Depth=1
	v_cvt_f32_u32_e32 v2, s28
	v_cvt_f32_u32_e32 v3, s29
	s_sub_u32 s0, 0, s28
	s_subb_u32 s30, 0, s29
	v_fmac_f32_e32 v2, 0x4f800000, v3
	v_rcp_f32_e32 v2, v2
	v_mul_f32_e32 v2, 0x5f7ffffc, v2
	v_mul_f32_e32 v3, 0x2f800000, v2
	v_trunc_f32_e32 v3, v3
	v_fmac_f32_e32 v2, 0xcf800000, v3
	v_cvt_u32_f32_e32 v3, v3
	v_cvt_u32_f32_e32 v2, v2
	v_mul_lo_u32 v8, s0, v3
	v_mul_hi_u32 v9, s0, v2
	v_mul_lo_u32 v10, s30, v2
	v_add_nc_u32_e32 v8, v9, v8
	v_mul_lo_u32 v9, s0, v2
	v_add_nc_u32_e32 v8, v8, v10
	v_mul_hi_u32 v10, v2, v9
	v_mul_lo_u32 v11, v2, v8
	v_mul_hi_u32 v12, v2, v8
	v_mul_hi_u32 v13, v3, v9
	v_mul_lo_u32 v9, v3, v9
	v_mul_hi_u32 v14, v3, v8
	v_mul_lo_u32 v8, v3, v8
	v_add_co_u32 v10, vcc_lo, v10, v11
	v_add_co_ci_u32_e32 v11, vcc_lo, 0, v12, vcc_lo
	v_add_co_u32 v9, vcc_lo, v10, v9
	v_add_co_ci_u32_e32 v9, vcc_lo, v11, v13, vcc_lo
	v_add_co_ci_u32_e32 v10, vcc_lo, 0, v14, vcc_lo
	v_add_co_u32 v8, vcc_lo, v9, v8
	v_add_co_ci_u32_e32 v9, vcc_lo, 0, v10, vcc_lo
	v_add_co_u32 v2, vcc_lo, v2, v8
	v_add_co_ci_u32_e32 v3, vcc_lo, v3, v9, vcc_lo
	v_mul_hi_u32 v8, s0, v2
	v_mul_lo_u32 v10, s30, v2
	v_mul_lo_u32 v9, s0, v3
	v_add_nc_u32_e32 v8, v8, v9
	v_mul_lo_u32 v9, s0, v2
	v_add_nc_u32_e32 v8, v8, v10
	v_mul_hi_u32 v10, v2, v9
	v_mul_lo_u32 v11, v2, v8
	v_mul_hi_u32 v12, v2, v8
	v_mul_hi_u32 v13, v3, v9
	v_mul_lo_u32 v9, v3, v9
	v_mul_hi_u32 v14, v3, v8
	v_mul_lo_u32 v8, v3, v8
	v_add_co_u32 v10, vcc_lo, v10, v11
	v_add_co_ci_u32_e32 v11, vcc_lo, 0, v12, vcc_lo
	v_add_co_u32 v9, vcc_lo, v10, v9
	v_add_co_ci_u32_e32 v9, vcc_lo, v11, v13, vcc_lo
	v_add_co_ci_u32_e32 v10, vcc_lo, 0, v14, vcc_lo
	v_add_co_u32 v8, vcc_lo, v9, v8
	v_add_co_ci_u32_e32 v9, vcc_lo, 0, v10, vcc_lo
	v_add_co_u32 v8, vcc_lo, v2, v8
	v_add_co_ci_u32_e32 v10, vcc_lo, v3, v9, vcc_lo
	v_mul_hi_u32 v12, v6, v8
	v_mad_u64_u32 v[8:9], null, v7, v8, 0
	v_mad_u64_u32 v[2:3], null, v6, v10, 0
	v_mad_u64_u32 v[10:11], null, v7, v10, 0
	v_add_co_u32 v2, vcc_lo, v12, v2
	v_add_co_ci_u32_e32 v3, vcc_lo, 0, v3, vcc_lo
	v_add_co_u32 v2, vcc_lo, v2, v8
	v_add_co_ci_u32_e32 v2, vcc_lo, v3, v9, vcc_lo
	v_add_co_ci_u32_e32 v3, vcc_lo, 0, v11, vcc_lo
	v_add_co_u32 v8, vcc_lo, v2, v10
	v_add_co_ci_u32_e32 v9, vcc_lo, 0, v3, vcc_lo
	v_mul_lo_u32 v10, s29, v8
	v_mad_u64_u32 v[2:3], null, s28, v8, 0
	v_mul_lo_u32 v11, s28, v9
	v_sub_co_u32 v2, vcc_lo, v6, v2
	v_add3_u32 v3, v3, v11, v10
	v_sub_nc_u32_e32 v10, v7, v3
	v_subrev_co_ci_u32_e64 v10, s0, s29, v10, vcc_lo
	v_add_co_u32 v11, s0, v8, 2
	v_add_co_ci_u32_e64 v12, s0, 0, v9, s0
	v_sub_co_u32 v13, s0, v2, s28
	v_sub_co_ci_u32_e32 v3, vcc_lo, v7, v3, vcc_lo
	v_subrev_co_ci_u32_e64 v10, s0, 0, v10, s0
	v_cmp_le_u32_e32 vcc_lo, s28, v13
	v_cmp_eq_u32_e64 s0, s29, v3
	v_cndmask_b32_e64 v13, 0, -1, vcc_lo
	v_cmp_le_u32_e32 vcc_lo, s29, v10
	v_cndmask_b32_e64 v14, 0, -1, vcc_lo
	v_cmp_le_u32_e32 vcc_lo, s28, v2
	;; [unrolled: 2-line block ×3, first 2 shown]
	v_cndmask_b32_e64 v15, 0, -1, vcc_lo
	v_cmp_eq_u32_e32 vcc_lo, s29, v10
	v_cndmask_b32_e64 v2, v15, v2, s0
	v_cndmask_b32_e32 v10, v14, v13, vcc_lo
	v_add_co_u32 v13, vcc_lo, v8, 1
	v_add_co_ci_u32_e32 v14, vcc_lo, 0, v9, vcc_lo
	v_cmp_ne_u32_e32 vcc_lo, 0, v10
	v_cndmask_b32_e32 v3, v14, v12, vcc_lo
	v_cndmask_b32_e32 v10, v13, v11, vcc_lo
	v_cmp_ne_u32_e32 vcc_lo, 0, v2
	v_cndmask_b32_e32 v55, v9, v3, vcc_lo
	v_cndmask_b32_e32 v54, v8, v10, vcc_lo
.LBB0_4:                                ;   in Loop: Header=BB0_2 Depth=1
	s_andn2_saveexec_b32 s0, s1
	s_cbranch_execz .LBB0_6
; %bb.5:                                ;   in Loop: Header=BB0_2 Depth=1
	v_cvt_f32_u32_e32 v2, s28
	s_sub_i32 s1, 0, s28
	v_mov_b32_e32 v55, v1
	v_rcp_iflag_f32_e32 v2, v2
	v_mul_f32_e32 v2, 0x4f7ffffe, v2
	v_cvt_u32_f32_e32 v2, v2
	v_mul_lo_u32 v3, s1, v2
	v_mul_hi_u32 v3, v2, v3
	v_add_nc_u32_e32 v2, v2, v3
	v_mul_hi_u32 v2, v6, v2
	v_mul_lo_u32 v3, v2, s28
	v_add_nc_u32_e32 v8, 1, v2
	v_sub_nc_u32_e32 v3, v6, v3
	v_subrev_nc_u32_e32 v9, s28, v3
	v_cmp_le_u32_e32 vcc_lo, s28, v3
	v_cndmask_b32_e32 v3, v3, v9, vcc_lo
	v_cndmask_b32_e32 v2, v2, v8, vcc_lo
	v_cmp_le_u32_e32 vcc_lo, s28, v3
	v_add_nc_u32_e32 v8, 1, v2
	v_cndmask_b32_e32 v54, v2, v8, vcc_lo
.LBB0_6:                                ;   in Loop: Header=BB0_2 Depth=1
	s_or_b32 exec_lo, exec_lo, s0
	v_mul_lo_u32 v8, v55, s28
	v_mul_lo_u32 v9, v54, s29
	s_load_dwordx2 s[0:1], s[22:23], 0x0
	v_mad_u64_u32 v[2:3], null, v54, s28, 0
	s_load_dwordx2 s[28:29], s[6:7], 0x0
	s_add_u32 s26, s26, 1
	s_addc_u32 s27, s27, 0
	s_add_u32 s6, s6, 8
	s_addc_u32 s7, s7, 0
	s_add_u32 s22, s22, 8
	v_add3_u32 v3, v3, v9, v8
	v_sub_co_u32 v2, vcc_lo, v6, v2
	s_addc_u32 s23, s23, 0
	s_add_u32 s24, s24, 8
	v_sub_co_ci_u32_e32 v3, vcc_lo, v7, v3, vcc_lo
	s_addc_u32 s25, s25, 0
	s_waitcnt lgkmcnt(0)
	v_mul_lo_u32 v6, s0, v3
	v_mul_lo_u32 v7, s1, v2
	v_mad_u64_u32 v[4:5], null, s0, v2, v[4:5]
	v_mul_lo_u32 v3, s28, v3
	v_mul_lo_u32 v8, s29, v2
	v_mad_u64_u32 v[52:53], null, s28, v2, v[52:53]
	v_cmp_ge_u64_e64 s0, s[26:27], s[10:11]
	v_add3_u32 v5, v7, v5, v6
	v_add3_u32 v53, v8, v53, v3
	s_and_b32 vcc_lo, exec_lo, s0
	s_cbranch_vccnz .LBB0_9
; %bb.7:                                ;   in Loop: Header=BB0_2 Depth=1
	v_mov_b32_e32 v6, v54
	v_mov_b32_e32 v7, v55
	s_branch .LBB0_2
.LBB0_8:
	v_mov_b32_e32 v53, v5
	v_mov_b32_e32 v55, v7
	;; [unrolled: 1-line block ×4, first 2 shown]
.LBB0_9:
	s_load_dwordx2 s[0:1], s[4:5], 0x28
	v_mul_hi_u32 v1, 0x1a98ef7, v0
	s_lshl_b64 s[6:7], s[10:11], 3
                                        ; implicit-def: $vgpr78
                                        ; implicit-def: $vgpr79
                                        ; implicit-def: $vgpr82
                                        ; implicit-def: $vgpr83
                                        ; implicit-def: $vgpr84
                                        ; implicit-def: $vgpr85
	s_add_u32 s4, s18, s6
	s_addc_u32 s5, s19, s7
	s_waitcnt lgkmcnt(0)
	v_cmp_gt_u64_e32 vcc_lo, s[0:1], v[54:55]
	v_cmp_le_u64_e64 s0, s[0:1], v[54:55]
	s_and_saveexec_b32 s1, s0
	s_xor_b32 s0, exec_lo, s1
; %bb.10:
	v_mul_u32_u24_e32 v1, 0x9a, v1
                                        ; implicit-def: $vgpr4_vgpr5
	v_sub_nc_u32_e32 v78, v0, v1
                                        ; implicit-def: $vgpr1
                                        ; implicit-def: $vgpr0
	v_add_nc_u32_e32 v79, 0x9a, v78
	v_add_nc_u32_e32 v82, 0x134, v78
	;; [unrolled: 1-line block ×5, first 2 shown]
; %bb.11:
	s_or_saveexec_b32 s10, s0
                                        ; implicit-def: $vgpr6_vgpr7
                                        ; implicit-def: $vgpr10_vgpr11
                                        ; implicit-def: $vgpr14_vgpr15
                                        ; implicit-def: $vgpr22_vgpr23
                                        ; implicit-def: $vgpr34_vgpr35
                                        ; implicit-def: $vgpr38_vgpr39
                                        ; implicit-def: $vgpr42_vgpr43
                                        ; implicit-def: $vgpr26_vgpr27
                                        ; implicit-def: $vgpr30_vgpr31
                                        ; implicit-def: $vgpr18_vgpr19
                                        ; implicit-def: $vgpr2_vgpr3
	s_xor_b32 exec_lo, exec_lo, s10
	s_cbranch_execz .LBB0_13
; %bb.12:
	s_add_u32 s0, s16, s6
	s_addc_u32 s1, s17, s7
	v_mul_u32_u24_e32 v1, 0x9a, v1
	s_load_dwordx2 s[0:1], s[0:1], 0x0
	v_lshlrev_b64 v[4:5], 4, v[4:5]
	v_sub_nc_u32_e32 v78, v0, v1
	v_add_nc_u32_e32 v79, 0x9a, v78
	v_mad_u64_u32 v[0:1], null, s20, v78, 0
	v_add_nc_u32_e32 v82, 0x134, v78
	v_add_nc_u32_e32 v83, 0x1ce, v78
	v_mad_u64_u32 v[2:3], null, s20, v79, 0
	v_add_nc_u32_e32 v84, 0x268, v78
	v_mad_u64_u32 v[6:7], null, s20, v82, 0
	v_mad_u64_u32 v[10:11], null, s20, v83, 0
	s_waitcnt lgkmcnt(0)
	v_mul_lo_u32 v15, s1, v54
	v_mul_lo_u32 v16, s0, v55
	v_mad_u64_u32 v[8:9], null, s0, v54, 0
	v_mad_u64_u32 v[12:13], null, s21, v78, v[1:2]
	;; [unrolled: 1-line block ×3, first 2 shown]
	v_add_nc_u32_e32 v85, 0x302, v78
	v_add_nc_u32_e32 v34, 0x436, v78
	v_add3_u32 v9, v9, v16, v15
	v_mad_u64_u32 v[15:16], null, s21, v79, v[3:4]
	v_mov_b32_e32 v1, v12
	v_mad_u64_u32 v[20:21], null, s20, v85, 0
	v_lshlrev_b64 v[8:9], 4, v[8:9]
	v_add_nc_u32_e32 v35, 0x4d0, v78
	v_lshlrev_b64 v[0:1], 4, v[0:1]
	v_mov_b32_e32 v3, v15
	v_add_nc_u32_e32 v15, 0x39c, v78
	v_add_nc_u32_e32 v44, 0x56a, v78
	v_mad_u64_u32 v[16:17], null, s21, v82, v[7:8]
	v_add_co_u32 v7, s0, s12, v8
	v_add_co_ci_u32_e64 v8, s0, s13, v9, s0
	v_lshlrev_b64 v[2:3], 4, v[2:3]
	v_add_co_u32 v32, s0, v7, v4
	v_add_co_ci_u32_e64 v33, s0, v8, v5, s0
	v_mad_u64_u32 v[8:9], null, s21, v83, v[11:12]
	v_add_co_u32 v0, s0, v32, v0
	v_add_co_ci_u32_e64 v1, s0, v33, v1, s0
	v_add_co_u32 v4, s0, v32, v2
	v_mov_b32_e32 v7, v16
	v_mov_b32_e32 v9, v14
	v_add_co_ci_u32_e64 v5, s0, v33, v3, s0
	v_mov_b32_e32 v11, v8
	s_clause 0x1
	global_load_dwordx4 v[0:3], v[0:1], off
	global_load_dwordx4 v[16:19], v[4:5], off
	v_lshlrev_b64 v[4:5], 4, v[6:7]
	v_mad_u64_u32 v[6:7], null, s21, v84, v[9:10]
	v_lshlrev_b64 v[8:9], 4, v[10:11]
	v_mov_b32_e32 v7, v21
	v_mad_u64_u32 v[11:12], null, s20, v15, 0
	v_add_co_u32 v4, s0, v32, v4
	v_mov_b32_e32 v14, v6
	v_mad_u64_u32 v[6:7], null, s21, v85, v[7:8]
	v_add_co_ci_u32_e64 v5, s0, v33, v5, s0
	v_add_co_u32 v7, s0, v32, v8
	v_add_co_ci_u32_e64 v8, s0, v33, v9, s0
	v_mov_b32_e32 v21, v6
	v_lshlrev_b64 v[9:10], 4, v[13:14]
	s_clause 0x1
	global_load_dwordx4 v[28:31], v[4:5], off
	global_load_dwordx4 v[24:27], v[7:8], off
	v_mov_b32_e32 v6, v12
	v_mad_u64_u32 v[13:14], null, s20, v34, 0
	v_lshlrev_b64 v[7:8], 4, v[20:21]
	v_add_co_u32 v4, s0, v32, v9
	v_add_co_ci_u32_e64 v5, s0, v33, v10, s0
	v_mad_u64_u32 v[20:21], null, s20, v35, 0
	v_mad_u64_u32 v[9:10], null, s21, v15, v[6:7]
	v_add_co_u32 v6, s0, v32, v7
	v_add_co_ci_u32_e64 v7, s0, v33, v8, s0
	v_mov_b32_e32 v8, v14
	v_mad_u64_u32 v[22:23], null, s20, v44, 0
	v_mov_b32_e32 v12, v9
	v_mov_b32_e32 v9, v21
	v_add_nc_u32_e32 v45, 0x604, v78
	s_clause 0x1
	global_load_dwordx4 v[40:43], v[4:5], off
	global_load_dwordx4 v[36:39], v[6:7], off
	v_lshlrev_b64 v[5:6], 4, v[11:12]
	v_mad_u64_u32 v[14:15], null, s21, v34, v[8:9]
	v_mad_u64_u32 v[8:9], null, s21, v35, v[9:10]
	;; [unrolled: 1-line block ×3, first 2 shown]
	v_mov_b32_e32 v4, v23
	v_mov_b32_e32 v21, v8
	v_mad_u64_u32 v[7:8], null, s21, v44, v[4:5]
	v_mov_b32_e32 v4, v10
	v_add_co_u32 v5, s0, v32, v5
	v_lshlrev_b64 v[10:11], 4, v[13:14]
	v_add_co_ci_u32_e64 v6, s0, v33, v6, s0
	v_mad_u64_u32 v[12:13], null, s21, v45, v[4:5]
	v_mov_b32_e32 v23, v7
	v_lshlrev_b64 v[13:14], 4, v[20:21]
	v_add_co_u32 v7, s0, v32, v10
	v_add_co_ci_u32_e64 v8, s0, v33, v11, s0
	v_mov_b32_e32 v10, v12
	v_lshlrev_b64 v[20:21], 4, v[22:23]
	v_add_co_u32 v11, s0, v32, v13
	v_add_co_ci_u32_e64 v12, s0, v33, v14, s0
	v_lshlrev_b64 v[9:10], 4, v[9:10]
	v_add_co_u32 v44, s0, v32, v20
	v_add_co_ci_u32_e64 v45, s0, v33, v21, s0
	v_add_co_u32 v46, s0, v32, v9
	v_add_co_ci_u32_e64 v47, s0, v33, v10, s0
	s_clause 0x4
	global_load_dwordx4 v[32:35], v[5:6], off
	global_load_dwordx4 v[20:23], v[7:8], off
	;; [unrolled: 1-line block ×5, first 2 shown]
.LBB0_13:
	s_or_b32 exec_lo, exec_lo, s10
	s_waitcnt vmcnt(9)
	v_add_f64 v[44:45], v[16:17], v[0:1]
	s_waitcnt vmcnt(0)
	v_add_f64 v[46:47], v[4:5], v[16:17]
	s_mov_b32 s6, 0xd9c712b6
	s_mov_b32 s10, 0x640f44db
	s_mov_b32 s7, 0x3fda9628
	s_mov_b32 s12, 0x7f775887
	s_mov_b32 s11, 0xbfc2375f
	s_mov_b32 s16, 0x9bcd5057
	s_mov_b32 s13, 0xbfe4f49e
	s_mov_b32 s17, 0xbfeeb42a
	v_add_f64 v[48:49], v[18:19], -v[6:7]
	v_add_f64 v[50:51], v[8:9], v[28:29]
	s_mov_b32 s18, 0x8764f0ba
	s_mov_b32 s19, 0x3feaeb8c
	;; [unrolled: 1-line block ×10, first 2 shown]
	v_add_f64 v[44:45], v[28:29], v[44:45]
	v_mul_f64 v[70:71], v[46:47], s[6:7]
	v_mul_f64 v[74:75], v[46:47], s[10:11]
	v_mul_f64 v[76:77], v[46:47], s[12:13]
	v_mul_f64 v[80:81], v[46:47], s[16:17]
	v_mul_f64 v[46:47], v[46:47], s[18:19]
	v_add_f64 v[56:57], v[30:31], -v[10:11]
	s_mov_b32 s27, 0xbfd207e7
	v_add_f64 v[58:59], v[12:13], v[24:25]
	s_mov_b32 s25, 0xbfe82f19
	s_mov_b32 s26, s34
	;; [unrolled: 1-line block ×3, first 2 shown]
	v_mul_f64 v[72:73], v[50:51], s[12:13]
	v_mul_f64 v[86:87], v[50:51], s[16:17]
	;; [unrolled: 1-line block ×5, first 2 shown]
	s_mov_b32 s39, 0xbfed1bb4
	s_mov_b32 s21, 0xbfefac9e
	;; [unrolled: 1-line block ×5, first 2 shown]
	v_add_f64 v[44:45], v[24:25], v[44:45]
	v_fma_f64 v[116:117], v[48:49], s[22:23], v[70:71]
	v_fma_f64 v[118:119], v[48:49], s[28:29], v[74:75]
	;; [unrolled: 1-line block ×4, first 2 shown]
	s_mov_b32 s31, 0x3fe14ced
	s_mov_b32 s37, 0xbfe14ced
	;; [unrolled: 1-line block ×3, first 2 shown]
	v_fma_f64 v[76:77], v[48:49], s[24:25], v[76:77]
	v_fma_f64 v[80:81], v[48:49], s[26:27], v[80:81]
	;; [unrolled: 1-line block ×6, first 2 shown]
	v_add_f64 v[60:61], v[26:27], -v[14:15]
	v_add_f64 v[62:63], v[20:21], v[40:41]
	v_mul_f64 v[88:89], v[58:59], s[16:17]
	v_mul_f64 v[90:91], v[58:59], s[6:7]
	;; [unrolled: 1-line block ×5, first 2 shown]
	v_fma_f64 v[58:59], v[56:57], s[0:1], v[72:73]
	v_add_f64 v[44:45], v[40:41], v[44:45]
	v_fma_f64 v[126:127], v[56:57], s[26:27], v[86:87]
	v_fma_f64 v[128:129], v[56:57], s[20:21], v[100:101]
	;; [unrolled: 1-line block ×9, first 2 shown]
	v_add_f64 v[56:57], v[0:1], v[116:117]
	v_add_f64 v[116:117], v[0:1], v[118:119]
	;; [unrolled: 1-line block ×10, first 2 shown]
	v_add_f64 v[64:65], v[42:43], -v[22:23]
	v_add_f64 v[66:67], v[32:33], v[36:37]
	v_add_f64 v[44:45], v[36:37], v[44:45]
	v_mul_f64 v[92:93], v[62:63], s[10:11]
	v_mul_f64 v[94:95], v[62:63], s[18:19]
	;; [unrolled: 1-line block ×5, first 2 shown]
	v_fma_f64 v[62:63], v[60:61], s[26:27], v[88:89]
	v_fma_f64 v[124:125], v[60:61], s[38:39], v[90:91]
	;; [unrolled: 1-line block ×4, first 2 shown]
	v_add_f64 v[56:57], v[58:59], v[56:57]
	v_add_f64 v[58:59], v[126:127], v[116:117]
	v_fma_f64 v[104:105], v[60:61], s[36:37], v[104:105]
	v_fma_f64 v[106:107], v[60:61], s[24:25], v[106:107]
	;; [unrolled: 1-line block ×6, first 2 shown]
	v_add_f64 v[60:61], v[128:129], v[118:119]
	v_add_f64 v[116:117], v[130:131], v[120:121]
	;; [unrolled: 1-line block ×9, first 2 shown]
	v_add_f64 v[68:69], v[38:39], -v[34:35]
	v_mul_f64 v[96:97], v[66:67], s[18:19]
	v_mul_f64 v[98:99], v[66:67], s[12:13]
	;; [unrolled: 1-line block ×5, first 2 shown]
	v_fma_f64 v[66:67], v[64:65], s[20:21], v[92:93]
	v_fma_f64 v[86:87], v[64:65], s[30:31], v[94:95]
	v_add_f64 v[56:57], v[62:63], v[56:57]
	v_add_f64 v[58:59], v[124:125], v[58:59]
	v_fma_f64 v[100:101], v[64:65], s[34:35], v[108:109]
	v_fma_f64 v[102:103], v[64:65], s[38:39], v[110:111]
	v_fma_f64 v[108:109], v[64:65], s[26:27], v[108:109]
	v_add_f64 v[60:61], v[134:135], v[60:61]
	v_add_f64 v[62:63], v[136:137], v[116:117]
	v_fma_f64 v[110:111], v[64:65], s[22:23], v[110:111]
	v_fma_f64 v[92:93], v[64:65], s[28:29], v[92:93]
	v_add_f64 v[44:45], v[20:21], v[44:45]
	v_fma_f64 v[94:95], v[64:65], s[36:37], v[94:95]
	v_fma_f64 v[118:119], v[64:65], s[0:1], v[46:47]
	;; [unrolled: 1-line block ×3, first 2 shown]
	v_add_f64 v[64:65], v[104:105], v[76:77]
	v_add_f64 v[76:77], v[106:107], v[80:81]
	;; [unrolled: 1-line block ×6, first 2 shown]
	v_fma_f64 v[48:49], v[68:69], s[36:37], v[96:97]
	v_fma_f64 v[80:81], v[68:69], s[0:1], v[98:99]
	;; [unrolled: 1-line block ×3, first 2 shown]
	v_add_f64 v[56:57], v[66:67], v[56:57]
	v_add_f64 v[58:59], v[86:87], v[58:59]
	v_fma_f64 v[90:91], v[68:69], s[28:29], v[114:115]
	v_fma_f64 v[104:105], v[68:69], s[22:23], v[112:113]
	;; [unrolled: 1-line block ×3, first 2 shown]
	v_add_f64 v[60:61], v[100:101], v[60:61]
	v_add_f64 v[62:63], v[102:103], v[62:63]
	v_fma_f64 v[96:97], v[68:69], s[30:31], v[96:97]
	v_fma_f64 v[98:99], v[68:69], s[24:25], v[98:99]
	v_add_f64 v[44:45], v[12:13], v[44:45]
	v_fma_f64 v[112:113], v[68:69], s[34:35], v[50:51]
	v_fma_f64 v[50:51], v[68:69], s[26:27], v[50:51]
	v_lshl_add_u32 v86, v82, 3, 0
	v_add_f64 v[64:65], v[108:109], v[64:65]
	v_add_f64 v[66:67], v[110:111], v[76:77]
	;; [unrolled: 1-line block ×6, first 2 shown]
	v_lshl_add_u32 v87, v83, 3, 0
	s_load_dwordx2 s[4:5], s[4:5], 0x0
	v_cmp_gt_u32_e64 s0, 0x4d, v78
	v_add_f64 v[46:47], v[48:49], v[56:57]
	v_add_f64 v[48:49], v[80:81], v[58:59]
	v_lshl_add_u32 v80, v79, 3, 0
	v_add_f64 v[56:57], v[88:89], v[60:61]
	v_add_f64 v[58:59], v[90:91], v[62:63]
	v_lshl_add_u32 v88, v84, 3, 0
	v_lshl_add_u32 v89, v85, 3, 0
	v_add_f64 v[44:45], v[8:9], v[44:45]
	v_add_f64 v[60:61], v[104:105], v[64:65]
	;; [unrolled: 1-line block ×7, first 2 shown]
	v_mad_u32_u24 v70, 0x58, v78, 0
	v_mad_i32_i24 v50, 0xffffffb0, v78, v70
	v_add_nc_u32_e32 v51, 0x1800, v50
	v_add_nc_u32_e32 v71, 0x2400, v50
	v_add_f64 v[44:45], v[4:5], v[44:45]
	ds_write2_b64 v70, v[46:47], v[48:49] offset0:2 offset1:3
	ds_write2_b64 v70, v[56:57], v[58:59] offset0:4 offset1:5
	;; [unrolled: 1-line block ×4, first 2 shown]
	ds_write_b64 v70, v[0:1] offset:80
	ds_write2_b64 v70, v[44:45], v[68:69] offset1:1
	s_waitcnt lgkmcnt(0)
	s_barrier
	buffer_gl0_inv
	ds_read_b64 v[60:61], v50
	ds_read_b64 v[56:57], v50 offset:11704
	ds_read_b64 v[62:63], v80
	ds_read_b64 v[64:65], v86
	;; [unrolled: 1-line block ×4, first 2 shown]
	ds_read2_b64 v[48:51], v51 offset0:79 offset1:233
	ds_read2_b64 v[44:47], v71 offset0:3 offset1:157
	v_mul_i32_i24_e32 v58, 0xffffffb0, v78
	v_add_nc_u32_e32 v81, v70, v58
                                        ; implicit-def: $vgpr58_vgpr59
	s_and_saveexec_b32 s1, s0
	s_cbranch_execz .LBB0_15
; %bb.14:
	ds_read_b64 v[0:1], v89
	ds_read_b64 v[58:59], v81 offset:12936
.LBB0_15:
	s_or_b32 exec_lo, exec_lo, s1
	v_add_f64 v[71:72], v[18:19], v[2:3]
	v_add_f64 v[4:5], v[16:17], -v[4:5]
	v_add_f64 v[8:9], v[28:29], -v[8:9]
	v_add_f64 v[18:19], v[6:7], v[18:19]
	v_add_f64 v[20:21], v[40:41], -v[20:21]
	v_add_f64 v[32:33], v[36:37], -v[32:33]
	v_add_f64 v[12:13], v[24:25], -v[12:13]
	v_add_f64 v[24:25], v[10:11], v[30:31]
	v_add_f64 v[28:29], v[22:23], v[42:43]
	s_waitcnt lgkmcnt(0)
	s_barrier
	buffer_gl0_inv
	v_add_f64 v[71:72], v[30:31], v[71:72]
	v_mul_f64 v[36:37], v[4:5], s[36:37]
	v_mul_f64 v[40:41], v[4:5], s[38:39]
	;; [unrolled: 1-line block ×8, first 2 shown]
	v_add_f64 v[30:31], v[34:35], v[38:39]
	v_mul_f64 v[96:97], v[12:13], s[20:21]
	v_mul_f64 v[98:99], v[12:13], s[22:23]
	;; [unrolled: 1-line block ×10, first 2 shown]
	v_add_f64 v[16:17], v[26:27], v[71:72]
	v_mul_f64 v[71:72], v[4:5], s[20:21]
	v_mul_f64 v[4:5], v[4:5], s[26:27]
	v_fma_f64 v[114:115], v[18:19], s[18:19], v[36:37]
	v_fma_f64 v[116:117], v[18:19], s[6:7], v[40:41]
	v_fma_f64 v[40:41], v[18:19], s[6:7], -v[40:41]
	v_fma_f64 v[120:121], v[18:19], s[12:13], v[73:74]
	v_fma_f64 v[73:74], v[18:19], s[12:13], -v[73:74]
	v_add_f64 v[26:27], v[14:15], v[26:27]
	v_fma_f64 v[124:125], v[24:25], s[12:13], v[90:91]
	v_fma_f64 v[90:91], v[24:25], s[12:13], -v[90:91]
	v_fma_f64 v[126:127], v[24:25], s[16:17], v[92:93]
	v_fma_f64 v[92:93], v[24:25], s[16:17], -v[92:93]
	;; [unrolled: 2-line block ×4, first 2 shown]
	v_add_f64 v[16:17], v[42:43], v[16:17]
	v_fma_f64 v[118:119], v[18:19], s[10:11], v[71:72]
	v_fma_f64 v[122:123], v[18:19], s[16:17], v[4:5]
	v_fma_f64 v[4:5], v[18:19], s[16:17], -v[4:5]
	v_fma_f64 v[71:72], v[18:19], s[10:11], -v[71:72]
	;; [unrolled: 1-line block ×3, first 2 shown]
	v_mul_f64 v[42:43], v[12:13], s[34:35]
	v_mul_f64 v[12:13], v[12:13], s[24:25]
	v_add_f64 v[40:41], v[2:3], v[40:41]
	v_add_f64 v[73:74], v[2:3], v[73:74]
	v_fma_f64 v[132:133], v[26:27], s[6:7], v[98:99]
	v_fma_f64 v[98:99], v[26:27], s[6:7], -v[98:99]
	v_fma_f64 v[134:135], v[26:27], s[18:19], v[100:101]
	v_fma_f64 v[100:101], v[26:27], s[18:19], -v[100:101]
	v_mul_f64 v[36:37], v[32:33], s[24:25]
	v_add_f64 v[16:17], v[38:39], v[16:17]
	v_fma_f64 v[38:39], v[24:25], s[6:7], v[75:76]
	v_fma_f64 v[75:76], v[24:25], s[6:7], -v[75:76]
	v_add_f64 v[24:25], v[2:3], v[114:115]
	v_add_f64 v[114:115], v[2:3], v[116:117]
	;; [unrolled: 1-line block ×8, first 2 shown]
	v_fma_f64 v[122:123], v[26:27], s[16:17], v[42:43]
	v_fma_f64 v[42:43], v[26:27], s[16:17], -v[42:43]
	v_fma_f64 v[136:137], v[26:27], s[12:13], v[12:13]
	v_fma_f64 v[12:13], v[26:27], s[12:13], -v[12:13]
	v_add_f64 v[73:74], v[94:95], v[73:74]
	v_mul_f64 v[18:19], v[32:33], s[22:23]
	v_add_f64 v[16:17], v[34:35], v[16:17]
	v_fma_f64 v[34:35], v[26:27], s[10:11], v[96:97]
	v_fma_f64 v[96:97], v[26:27], s[10:11], -v[96:97]
	v_add_f64 v[24:25], v[38:39], v[24:25]
	v_add_f64 v[26:27], v[124:125], v[114:115]
	;; [unrolled: 1-line block ×9, first 2 shown]
	v_fma_f64 v[71:72], v[28:29], s[12:13], -v[102:103]
	v_fma_f64 v[75:76], v[28:29], s[10:11], v[104:105]
	v_fma_f64 v[92:93], v[28:29], s[10:11], -v[104:105]
	v_fma_f64 v[104:105], v[28:29], s[18:19], -v[106:107]
	v_fma_f64 v[114:115], v[28:29], s[6:7], v[20:21]
	v_fma_f64 v[20:21], v[28:29], s[6:7], -v[20:21]
	v_add_f64 v[16:17], v[22:23], v[16:17]
	v_mul_f64 v[22:23], v[32:33], s[20:21]
	v_fma_f64 v[32:33], v[28:29], s[12:13], v[102:103]
	v_fma_f64 v[102:103], v[28:29], s[18:19], v[106:107]
	v_add_f64 v[24:25], v[34:35], v[24:25]
	v_add_f64 v[26:27], v[122:123], v[26:27]
	;; [unrolled: 1-line block ×3, first 2 shown]
	v_fma_f64 v[106:107], v[28:29], s[16:17], v[108:109]
	v_fma_f64 v[108:109], v[28:29], s[16:17], -v[108:109]
	v_add_f64 v[28:29], v[42:43], v[38:39]
	v_add_f64 v[38:39], v[134:135], v[90:91]
	;; [unrolled: 1-line block ×7, first 2 shown]
	v_fma_f64 v[73:74], v[30:31], s[18:19], v[112:113]
	v_fma_f64 v[90:91], v[30:31], s[18:19], -v[112:113]
	v_fma_f64 v[94:95], v[30:31], s[12:13], v[36:37]
	v_fma_f64 v[36:37], v[30:31], s[12:13], -v[36:37]
	;; [unrolled: 2-line block ×3, first 2 shown]
	v_add_f64 v[12:13], v[14:15], v[16:17]
	v_fma_f64 v[14:15], v[30:31], s[16:17], v[110:111]
	v_fma_f64 v[16:17], v[30:31], s[16:17], -v[110:111]
	v_fma_f64 v[98:99], v[30:31], s[10:11], v[22:23]
	v_fma_f64 v[22:23], v[30:31], s[10:11], -v[22:23]
	v_add_f64 v[24:25], v[32:33], v[24:25]
	v_add_f64 v[26:27], v[75:76], v[26:27]
	;; [unrolled: 1-line block ×14, first 2 shown]
                                        ; implicit-def: $vgpr74_vgpr75
	v_add_f64 v[20:21], v[90:91], v[28:29]
	v_add_f64 v[26:27], v[96:97], v[32:33]
	;; [unrolled: 1-line block ×8, first 2 shown]
	v_add_nc_u32_e32 v6, 0x1800, v81
	v_add_nc_u32_e32 v7, 0x2400, v81
	ds_write2_b64 v70, v[14:15], v[24:25] offset0:2 offset1:3
	ds_write2_b64 v70, v[26:27], v[28:29] offset0:4 offset1:5
	;; [unrolled: 1-line block ×4, first 2 shown]
	ds_write_b64 v70, v[36:37] offset:80
	ds_write2_b64 v70, v[2:3], v[12:13] offset1:1
	s_waitcnt lgkmcnt(0)
	s_barrier
	buffer_gl0_inv
	ds_read2_b64 v[8:11], v6 offset0:79 offset1:233
	ds_read2_b64 v[4:7], v7 offset0:3 offset1:157
	ds_read_b64 v[38:39], v80
	ds_read_b64 v[40:41], v86
	;; [unrolled: 1-line block ×5, first 2 shown]
	ds_read_b64 v[76:77], v81 offset:11704
	s_and_saveexec_b32 s1, s0
	s_cbranch_execz .LBB0_17
; %bb.16:
	ds_read_b64 v[36:37], v89
	ds_read_b64 v[74:75], v81 offset:12936
.LBB0_17:
	s_or_b32 exec_lo, exec_lo, s1
	v_and_b32_e32 v2, 0xff, v78
	v_mov_b32_e32 v12, 0xba2f
	v_mov_b32_e32 v13, 4
	;; [unrolled: 1-line block ×3, first 2 shown]
	v_mul_lo_u16 v2, 0x75, v2
	v_mul_u32_u24_sdwa v14, v79, v12 dst_sel:DWORD dst_unused:UNUSED_PAD src0_sel:WORD_0 src1_sel:DWORD
	v_mul_u32_u24_sdwa v15, v83, v12 dst_sel:DWORD dst_unused:UNUSED_PAD src0_sel:WORD_0 src1_sel:DWORD
	;; [unrolled: 1-line block ×3, first 2 shown]
	v_lshrrev_b16 v2, 8, v2
	v_lshrrev_b32_e32 v100, 19, v14
	v_lshrrev_b32_e32 v102, 19, v15
	;; [unrolled: 1-line block ×3, first 2 shown]
	v_sub_nc_u16 v3, v78, v2
	v_mul_u32_u24_e32 v113, 0xb0, v100
	v_mul_lo_u16 v15, v102, 11
	v_mul_lo_u16 v16, v105, 11
	v_mul_u32_u24_e32 v115, 0xb0, v102
	v_lshrrev_b16 v3, 1, v3
	v_sub_nc_u16 v109, v83, v15
	v_sub_nc_u16 v110, v84, v16
	v_and_b32_e32 v3, 0x7f, v3
	v_lshlrev_b32_sdwa v15, v13, v109 dst_sel:DWORD dst_unused:UNUSED_PAD src0_sel:DWORD src1_sel:WORD_0
	v_lshlrev_b32_sdwa v32, v13, v110 dst_sel:DWORD dst_unused:UNUSED_PAD src0_sel:DWORD src1_sel:WORD_0
	v_add_nc_u16 v2, v3, v2
	v_mul_u32_u24_sdwa v3, v82, v12 dst_sel:DWORD dst_unused:UNUSED_PAD src0_sel:WORD_0 src1_sel:DWORD
	v_mul_u32_u24_sdwa v12, v85, v12 dst_sel:DWORD dst_unused:UNUSED_PAD src0_sel:WORD_0 src1_sel:DWORD
	v_lshrrev_b16 v104, 3, v2
	v_lshrrev_b32_e32 v101, 19, v3
	v_mul_lo_u16 v3, v100, 11
	v_lshrrev_b32_e32 v111, 19, v12
	v_mul_lo_u16 v2, v104, 11
	v_mul_lo_u16 v14, v101, 11
	v_sub_nc_u16 v107, v79, v3
	v_mul_u32_u24_e32 v114, 0xb0, v101
	v_sub_nc_u16 v106, v78, v2
	v_sub_nc_u16 v108, v82, v14
	v_lshlrev_b32_sdwa v3, v13, v107 dst_sel:DWORD dst_unused:UNUSED_PAD src0_sel:DWORD src1_sel:WORD_0
	v_lshlrev_b32_sdwa v2, v13, v106 dst_sel:DWORD dst_unused:UNUSED_PAD src0_sel:DWORD src1_sel:BYTE_0
	v_lshlrev_b32_sdwa v14, v13, v108 dst_sel:DWORD dst_unused:UNUSED_PAD src0_sel:DWORD src1_sel:WORD_0
	s_clause 0x4
	global_load_dwordx4 v[16:19], v2, s[8:9]
	global_load_dwordx4 v[20:23], v3, s[8:9]
	;; [unrolled: 1-line block ×5, first 2 shown]
	v_mul_lo_u16 v2, v111, 11
	v_sub_nc_u16 v82, v85, v2
	v_lshlrev_b32_sdwa v2, v13, v82 dst_sel:DWORD dst_unused:UNUSED_PAD src0_sel:DWORD src1_sel:WORD_0
	global_load_dwordx4 v[12:15], v2, s[8:9]
	s_waitcnt vmcnt(0) lgkmcnt(0)
	s_barrier
	buffer_gl0_inv
	v_mul_f64 v[2:3], v[8:9], v[18:19]
	v_mul_f64 v[83:84], v[10:11], v[22:23]
	;; [unrolled: 1-line block ×6, first 2 shown]
	v_fma_f64 v[2:3], v[48:49], v[16:17], -v[2:3]
	v_fma_f64 v[83:84], v[50:51], v[20:21], -v[83:84]
	v_fma_f64 v[90:91], v[44:45], v[24:25], -v[90:91]
	v_fma_f64 v[92:93], v[46:47], v[28:29], -v[92:93]
	v_fma_f64 v[94:95], v[56:57], v[32:33], -v[94:95]
	v_add_f64 v[98:99], v[60:61], -v[2:3]
	v_fma_f64 v[2:3], v[58:59], v[12:13], -v[96:97]
	v_add_f64 v[84:85], v[62:63], -v[83:84]
	v_add_f64 v[90:91], v[64:65], -v[90:91]
	;; [unrolled: 1-line block ×4, first 2 shown]
	v_mov_b32_e32 v83, 3
	v_fma_f64 v[96:97], v[60:61], 2.0, -v[98:99]
	v_add_f64 v[2:3], v[0:1], -v[2:3]
	v_fma_f64 v[100:101], v[62:63], 2.0, -v[84:85]
	v_fma_f64 v[102:103], v[64:65], 2.0, -v[90:91]
	;; [unrolled: 1-line block ×4, first 2 shown]
	v_mul_u32_u24_e32 v64, 0xb0, v105
	v_lshlrev_b32_sdwa v61, v83, v107 dst_sel:DWORD dst_unused:UNUSED_PAD src0_sel:DWORD src1_sel:WORD_0
	v_lshlrev_b32_sdwa v62, v83, v108 dst_sel:DWORD dst_unused:UNUSED_PAD src0_sel:DWORD src1_sel:WORD_0
	;; [unrolled: 1-line block ×3, first 2 shown]
	v_mul_u32_u24_sdwa v65, v104, v112 dst_sel:DWORD dst_unused:UNUSED_PAD src0_sel:WORD_0 src1_sel:DWORD
	v_lshlrev_b32_sdwa v104, v83, v106 dst_sel:DWORD dst_unused:UNUSED_PAD src0_sel:DWORD src1_sel:BYTE_0
	v_lshlrev_b32_sdwa v105, v83, v110 dst_sel:DWORD dst_unused:UNUSED_PAD src0_sel:DWORD src1_sel:WORD_0
	v_mul_lo_u16 v60, v111, 22
	v_add3_u32 v61, 0, v113, v61
	v_add3_u32 v62, 0, v114, v62
	;; [unrolled: 1-line block ×5, first 2 shown]
	ds_write2_b64 v65, v[96:97], v[98:99] offset1:11
	ds_write2_b64 v61, v[100:101], v[84:85] offset1:11
	;; [unrolled: 1-line block ×5, first 2 shown]
	s_and_saveexec_b32 s1, s0
	s_cbranch_execz .LBB0_19
; %bb.18:
	v_fma_f64 v[0:1], v[0:1], 2.0, -v[2:3]
	v_lshlrev_b32_sdwa v66, v83, v82 dst_sel:DWORD dst_unused:UNUSED_PAD src0_sel:DWORD src1_sel:WORD_0
	v_lshlrev_b32_sdwa v67, v83, v60 dst_sel:DWORD dst_unused:UNUSED_PAD src0_sel:DWORD src1_sel:WORD_0
	v_add3_u32 v66, 0, v66, v67
	ds_write2_b64 v66, v[0:1], v[2:3] offset1:11
.LBB0_19:
	s_or_b32 exec_lo, exec_lo, s1
	v_mul_f64 v[0:1], v[48:49], v[18:19]
	v_mul_f64 v[18:19], v[50:51], v[22:23]
	;; [unrolled: 1-line block ×6, first 2 shown]
	s_waitcnt lgkmcnt(0)
	s_barrier
	buffer_gl0_inv
	v_fma_f64 v[0:1], v[8:9], v[16:17], v[0:1]
	v_fma_f64 v[8:9], v[10:11], v[20:21], v[18:19]
	;; [unrolled: 1-line block ×5, first 2 shown]
	v_add_nc_u32_e32 v28, 0x1c00, v81
	v_add_nc_u32_e32 v29, 0x2400, v81
	v_add_f64 v[26:27], v[72:73], -v[0:1]
	v_add_f64 v[30:31], v[38:39], -v[8:9]
	;; [unrolled: 1-line block ×4, first 2 shown]
	v_fma_f64 v[6:7], v[74:75], v[12:13], v[14:15]
	v_add_f64 v[44:45], v[70:71], -v[10:11]
	ds_read_b64 v[0:1], v81
	ds_read_b64 v[24:25], v80
	;; [unrolled: 1-line block ×6, first 2 shown]
	ds_read_b64 v[18:19], v81 offset:12320
	ds_read2_b64 v[8:11], v28 offset0:28 offset1:182
	ds_read2_b64 v[12:15], v29 offset0:80 offset1:234
	s_waitcnt lgkmcnt(0)
	s_barrier
	buffer_gl0_inv
	v_fma_f64 v[46:47], v[72:73], 2.0, -v[26:27]
	v_fma_f64 v[38:39], v[38:39], 2.0, -v[30:31]
	;; [unrolled: 1-line block ×4, first 2 shown]
	v_add_f64 v[6:7], v[36:37], -v[6:7]
	v_fma_f64 v[48:49], v[70:71], 2.0, -v[44:45]
	ds_write2_b64 v65, v[46:47], v[26:27] offset1:11
	ds_write2_b64 v61, v[38:39], v[30:31] offset1:11
	;; [unrolled: 1-line block ×5, first 2 shown]
	s_and_saveexec_b32 s1, s0
	s_cbranch_execz .LBB0_21
; %bb.20:
	v_fma_f64 v[26:27], v[36:37], 2.0, -v[6:7]
	v_mov_b32_e32 v30, 3
	v_lshlrev_b32_sdwa v31, v30, v82 dst_sel:DWORD dst_unused:UNUSED_PAD src0_sel:DWORD src1_sel:WORD_0
	v_lshlrev_b32_sdwa v30, v30, v60 dst_sel:DWORD dst_unused:UNUSED_PAD src0_sel:DWORD src1_sel:WORD_0
	v_add3_u32 v30, 0, v31, v30
	ds_write2_b64 v30, v[26:27], v[6:7] offset1:11
.LBB0_21:
	s_or_b32 exec_lo, exec_lo, s1
	v_lshrrev_b16 v26, 1, v78
	v_mov_b32_e32 v30, 10
	s_waitcnt lgkmcnt(0)
	s_barrier
	buffer_gl0_inv
	v_and_b32_e32 v26, 0x7f, v26
	s_mov_b32 s20, 0xf8bb580b
	s_mov_b32 s24, 0x8eee2c13
	;; [unrolled: 1-line block ×4, first 2 shown]
	v_mul_lo_u16 v26, 0xbb, v26
	s_mov_b32 s25, 0xbfed1bb4
	s_mov_b32 s17, 0xbfefac9e
	;; [unrolled: 1-line block ×4, first 2 shown]
	v_lshrrev_b16 v26, 11, v26
	s_mov_b32 s27, 0xbfe82f19
	s_mov_b32 s29, 0xbfd207e7
	;; [unrolled: 1-line block ×4, first 2 shown]
	v_mul_lo_u16 v27, v26, 22
	s_mov_b32 s12, 0x640f44db
	s_mov_b32 s7, 0x3feaeb8c
	;; [unrolled: 1-line block ×4, first 2 shown]
	v_sub_nc_u16 v27, v78, v27
	s_mov_b32 s18, 0x7f775887
	s_mov_b32 s22, 0x9bcd5057
	;; [unrolled: 1-line block ×4, first 2 shown]
	v_mul_u32_u24_sdwa v30, v27, v30 dst_sel:DWORD dst_unused:UNUSED_PAD src0_sel:BYTE_0 src1_sel:DWORD
	s_mov_b32 s37, 0x3fe14ced
	s_mov_b32 s34, s28
	;; [unrolled: 1-line block ×4, first 2 shown]
	v_lshlrev_b32_e32 v46, 4, v30
	s_mov_b32 s19, 0xbfe4f49e
	s_mov_b32 s23, 0xbfeeb42a
	;; [unrolled: 1-line block ×4, first 2 shown]
	s_clause 0x9
	global_load_dwordx4 v[30:33], v46, s[8:9] offset:176
	global_load_dwordx4 v[34:37], v46, s[8:9] offset:192
	global_load_dwordx4 v[48:51], v46, s[8:9] offset:320
	global_load_dwordx4 v[38:41], v46, s[8:9] offset:208
	global_load_dwordx4 v[68:71], v46, s[8:9] offset:304
	global_load_dwordx4 v[42:45], v46, s[8:9] offset:224
	global_load_dwordx4 v[72:75], v46, s[8:9] offset:240
	global_load_dwordx4 v[82:85], v46, s[8:9] offset:288
	global_load_dwordx4 v[90:93], v46, s[8:9] offset:256
	global_load_dwordx4 v[94:97], v46, s[8:9] offset:272
	ds_read_b64 v[46:47], v80
	ds_read_b64 v[56:57], v86
	ds_read_b64 v[62:63], v87
	ds_read_b64 v[76:77], v88
	ds_read2_b64 v[98:101], v28 offset0:28 offset1:182
	ds_read2_b64 v[102:105], v29 offset0:80 offset1:234
	ds_read_b64 v[86:87], v89
	ds_read_b64 v[28:29], v81 offset:12320
	v_cmp_gt_u32_e64 s0, 0x58, v78
	s_waitcnt vmcnt(9) lgkmcnt(7)
	v_mul_f64 v[58:59], v[46:47], v[32:33]
	s_waitcnt vmcnt(8) lgkmcnt(6)
	v_mul_f64 v[60:61], v[56:57], v[36:37]
	v_mul_f64 v[36:37], v[4:5], v[36:37]
	s_waitcnt vmcnt(6) lgkmcnt(5)
	v_mul_f64 v[66:67], v[62:63], v[40:41]
	;; [unrolled: 3-line block ×3, first 2 shown]
	v_mul_f64 v[88:89], v[14:15], v[70:71]
	v_mul_f64 v[108:109], v[16:17], v[44:45]
	s_waitcnt vmcnt(3) lgkmcnt(1)
	v_mul_f64 v[110:111], v[86:87], v[74:75]
	v_mul_f64 v[74:75], v[22:23], v[74:75]
	s_waitcnt vmcnt(1)
	v_mul_f64 v[116:117], v[98:99], v[92:93]
	s_waitcnt lgkmcnt(0)
	v_mul_f64 v[118:119], v[28:29], v[50:51]
	v_mul_f64 v[70:71], v[104:105], v[70:71]
	;; [unrolled: 1-line block ×4, first 2 shown]
	s_waitcnt vmcnt(0)
	v_mul_f64 v[120:121], v[10:11], v[96:97]
	v_mul_f64 v[84:85], v[102:103], v[84:85]
	;; [unrolled: 1-line block ×3, first 2 shown]
	v_fma_f64 v[58:59], v[24:25], v[30:31], -v[58:59]
	v_mul_f64 v[24:25], v[24:25], v[32:33]
	v_mul_f64 v[32:33], v[18:19], v[50:51]
	v_fma_f64 v[64:65], v[4:5], v[34:35], -v[60:61]
	v_fma_f64 v[66:67], v[20:21], v[38:39], -v[66:67]
	;; [unrolled: 1-line block ×3, first 2 shown]
	v_fma_f64 v[44:45], v[56:57], v[34:35], v[36:37]
	v_fma_f64 v[4:5], v[104:105], v[68:69], v[88:89]
	;; [unrolled: 1-line block ×3, first 2 shown]
	v_fma_f64 v[70:71], v[14:15], v[68:69], -v[70:71]
	v_fma_f64 v[34:35], v[98:99], v[90:91], v[92:93]
	v_fma_f64 v[68:69], v[12:13], v[82:83], -v[84:85]
	v_add_f64 v[114:115], v[0:1], v[58:59]
	v_fma_f64 v[60:61], v[46:47], v[30:31], v[24:25]
	v_fma_f64 v[32:33], v[28:29], v[48:49], v[32:33]
	;; [unrolled: 1-line block ×4, first 2 shown]
	v_fma_f64 v[40:41], v[22:23], v[72:73], -v[110:111]
	v_fma_f64 v[42:43], v[8:9], v[90:91], -v[116:117]
	;; [unrolled: 1-line block ×3, first 2 shown]
	v_fma_f64 v[28:29], v[102:103], v[82:83], v[112:113]
	v_fma_f64 v[62:63], v[10:11], v[94:95], -v[96:97]
	v_add_f64 v[10:11], v[44:45], -v[4:5]
	v_fma_f64 v[30:31], v[100:101], v[94:95], v[120:121]
	v_add_f64 v[20:21], v[64:65], v[70:71]
	v_add_f64 v[56:57], v[36:37], -v[34:35]
	v_add_f64 v[22:23], v[66:67], v[68:69]
	v_add_f64 v[16:17], v[114:115], v[64:65]
	v_add_f64 v[8:9], v[60:61], -v[32:33]
	v_add_f64 v[48:49], v[40:41], v[42:43]
	v_add_f64 v[12:13], v[46:47], -v[28:29]
	v_add_f64 v[24:25], v[50:51], v[62:63]
	v_mul_f64 v[86:87], v[10:11], s[24:25]
	v_mul_f64 v[88:89], v[10:11], s[26:27]
	;; [unrolled: 1-line block ×5, first 2 shown]
	v_add_f64 v[18:19], v[38:39], -v[30:31]
	v_mul_f64 v[110:111], v[56:57], s[28:29]
	v_mul_f64 v[112:113], v[56:57], s[36:37]
	v_add_f64 v[14:15], v[16:17], v[66:67]
	v_add_f64 v[16:17], v[58:59], v[72:73]
	v_mul_f64 v[74:75], v[8:9], s[20:21]
	v_mul_f64 v[76:77], v[8:9], s[24:25]
	;; [unrolled: 1-line block ×10, first 2 shown]
	v_fma_f64 v[124:125], v[20:21], s[10:11], -v[86:87]
	v_fma_f64 v[86:87], v[20:21], s[10:11], v[86:87]
	v_fma_f64 v[126:127], v[20:21], s[18:19], -v[88:89]
	v_fma_f64 v[88:89], v[20:21], s[18:19], v[88:89]
	;; [unrolled: 2-line block ×4, first 2 shown]
	v_fma_f64 v[132:133], v[20:21], s[6:7], -v[10:11]
	v_add_f64 v[14:15], v[14:15], v[50:51]
	v_fma_f64 v[10:11], v[20:21], s[6:7], v[10:11]
	v_fma_f64 v[114:115], v[16:17], s[6:7], -v[74:75]
	v_fma_f64 v[116:117], v[16:17], s[10:11], -v[76:77]
	v_fma_f64 v[76:77], v[16:17], s[10:11], v[76:77]
	v_fma_f64 v[118:119], v[16:17], s[12:13], -v[82:83]
	v_fma_f64 v[120:121], v[16:17], s[18:19], -v[84:85]
	v_fma_f64 v[84:85], v[16:17], s[18:19], v[84:85]
	v_fma_f64 v[122:123], v[16:17], s[22:23], -v[8:9]
	v_fma_f64 v[8:9], v[16:17], s[22:23], v[8:9]
	v_fma_f64 v[82:83], v[16:17], s[12:13], v[82:83]
	;; [unrolled: 1-line block ×3, first 2 shown]
	v_mul_f64 v[102:103], v[18:19], s[26:27]
	v_mul_f64 v[104:105], v[18:19], s[38:39]
	;; [unrolled: 1-line block ×5, first 2 shown]
	v_fma_f64 v[134:135], v[22:23], s[22:23], -v[96:97]
	v_fma_f64 v[96:97], v[22:23], s[22:23], v[96:97]
	v_fma_f64 v[136:137], v[22:23], s[10:11], -v[98:99]
	v_fma_f64 v[98:99], v[22:23], s[10:11], v[98:99]
	v_fma_f64 v[138:139], v[22:23], s[6:7], -v[100:101]
	v_add_f64 v[14:15], v[14:15], v[40:41]
	v_fma_f64 v[100:101], v[22:23], s[6:7], v[100:101]
	v_add_f64 v[20:21], v[0:1], v[114:115]
	v_add_f64 v[114:115], v[0:1], v[116:117]
	;; [unrolled: 1-line block ×10, first 2 shown]
	v_fma_f64 v[122:123], v[22:23], s[12:13], -v[94:95]
	v_fma_f64 v[94:95], v[22:23], s[12:13], v[94:95]
	v_fma_f64 v[140:141], v[22:23], s[18:19], -v[12:13]
	v_fma_f64 v[12:13], v[22:23], s[18:19], v[12:13]
	v_mul_f64 v[74:75], v[56:57], s[26:27]
	v_mul_f64 v[16:17], v[56:57], s[30:31]
	;; [unrolled: 1-line block ×3, first 2 shown]
	v_add_f64 v[14:15], v[14:15], v[42:43]
	v_add_f64 v[20:21], v[124:125], v[20:21]
	;; [unrolled: 1-line block ×11, first 2 shown]
	v_fma_f64 v[82:83], v[24:25], s[18:19], -v[102:103]
	v_fma_f64 v[86:87], v[24:25], s[18:19], v[102:103]
	v_fma_f64 v[90:91], v[24:25], s[12:13], -v[104:105]
	v_fma_f64 v[102:103], v[24:25], s[12:13], v[104:105]
	v_fma_f64 v[104:105], v[24:25], s[6:7], -v[106:107]
	v_fma_f64 v[106:107], v[24:25], s[6:7], v[106:107]
	v_fma_f64 v[116:117], v[24:25], s[22:23], -v[108:109]
	v_fma_f64 v[108:109], v[24:25], s[22:23], v[108:109]
	v_fma_f64 v[118:119], v[24:25], s[10:11], -v[18:19]
	v_fma_f64 v[18:19], v[24:25], s[10:11], v[18:19]
	v_add_f64 v[14:15], v[14:15], v[62:63]
	v_add_f64 v[20:21], v[122:123], v[20:21]
	;; [unrolled: 1-line block ×11, first 2 shown]
	v_fma_f64 v[94:95], v[48:49], s[22:23], v[110:111]
	v_fma_f64 v[96:97], v[48:49], s[6:7], -v[112:113]
	v_fma_f64 v[98:99], v[48:49], s[6:7], v[112:113]
	v_fma_f64 v[100:101], v[48:49], s[18:19], -v[74:75]
	;; [unrolled: 2-line block ×3, first 2 shown]
	v_fma_f64 v[56:57], v[48:49], s[12:13], v[56:57]
	v_add_f64 v[12:13], v[14:15], v[68:69]
	v_fma_f64 v[14:15], v[48:49], s[22:23], -v[110:111]
	v_fma_f64 v[110:111], v[48:49], s[10:11], -v[16:17]
	v_fma_f64 v[16:17], v[48:49], s[10:11], v[16:17]
	v_add_f64 v[20:21], v[82:83], v[20:21]
	v_add_f64 v[22:23], v[90:91], v[22:23]
	;; [unrolled: 1-line block ×21, first 2 shown]
	v_mov_b32_e32 v18, 0x790
	v_mov_b32_e32 v19, 3
	v_add_nc_u32_e32 v76, 0xf00, v81
	v_add_nc_u32_e32 v77, 0x1e00, v81
	ds_read_b64 v[74:75], v81
	v_mul_u32_u24_sdwa v18, v26, v18 dst_sel:DWORD dst_unused:UNUSED_PAD src0_sel:WORD_0 src1_sel:DWORD
	v_lshlrev_b32_sdwa v19, v19, v27 dst_sel:DWORD dst_unused:UNUSED_PAD src0_sel:DWORD src1_sel:BYTE_0
	s_waitcnt lgkmcnt(0)
	v_add_f64 v[12:13], v[12:13], v[72:73]
	s_barrier
	buffer_gl0_inv
	v_add3_u32 v82, 0, v18, v19
	ds_write2_b64 v82, v[20:21], v[22:23] offset0:44 offset1:66
	ds_write2_b64 v82, v[24:25], v[16:17] offset0:88 offset1:110
	;; [unrolled: 1-line block ×4, first 2 shown]
	ds_write_b64 v82, v[0:1] offset:1760
	ds_write2_b64 v82, v[12:13], v[14:15] offset1:22
	s_waitcnt lgkmcnt(0)
	s_barrier
	buffer_gl0_inv
	ds_read2_b64 v[16:19], v81 offset1:242
	ds_read2_b64 v[20:23], v76 offset0:4 offset1:246
	ds_read2_b64 v[24:27], v77 offset0:8 offset1:250
	ds_read_b64 v[56:57], v81 offset:11616
                                        ; implicit-def: $vgpr14_vgpr15
	s_and_saveexec_b32 s1, s0
	s_cbranch_execz .LBB0_23
; %bb.22:
	v_add_nc_u32_e32 v0, 0xc00, v81
	v_add_nc_u32_e32 v1, 0x1b80, v81
	v_add_nc_u32_e32 v12, 0x2a80, v81
	ds_read_b64 v[48:49], v80
	ds_read2_b64 v[8:11], v0 offset0:12 offset1:254
	ds_read2_b64 v[0:3], v1 offset1:242
	ds_read2_b64 v[12:15], v12 offset0:4 offset1:246
.LBB0_23:
	s_or_b32 exec_lo, exec_lo, s1
	v_add_f64 v[83:84], v[74:75], v[60:61]
	v_add_f64 v[58:59], v[58:59], -v[72:73]
	v_add_f64 v[66:67], v[66:67], -v[68:69]
	;; [unrolled: 1-line block ×3, first 2 shown]
	v_add_f64 v[60:61], v[60:61], v[32:33]
	v_add_f64 v[40:41], v[40:41], -v[42:43]
	v_add_f64 v[50:51], v[50:51], -v[62:63]
	v_add_f64 v[62:63], v[38:39], v[30:31]
	v_add_f64 v[70:71], v[36:37], v[34:35]
	s_waitcnt lgkmcnt(0)
	s_barrier
	buffer_gl0_inv
	v_add_f64 v[83:84], v[83:84], v[44:45]
	v_mul_f64 v[42:43], v[58:59], s[20:21]
	v_mul_f64 v[72:73], v[58:59], s[24:25]
	;; [unrolled: 1-line block ×3, first 2 shown]
	v_add_f64 v[44:45], v[44:45], v[4:5]
	v_mul_f64 v[87:88], v[64:65], s[24:25]
	v_mul_f64 v[89:90], v[64:65], s[26:27]
	;; [unrolled: 1-line block ×15, first 2 shown]
	v_add_f64 v[68:69], v[83:84], v[46:47]
	v_mul_f64 v[83:84], v[58:59], s[16:17]
	v_mul_f64 v[58:59], v[58:59], s[28:29]
	v_fma_f64 v[113:114], v[60:61], s[6:7], v[42:43]
	v_fma_f64 v[115:116], v[60:61], s[10:11], v[72:73]
	v_fma_f64 v[72:73], v[60:61], s[10:11], -v[72:73]
	v_fma_f64 v[119:120], v[60:61], s[18:19], v[85:86]
	v_fma_f64 v[85:86], v[60:61], s[18:19], -v[85:86]
	v_fma_f64 v[42:43], v[60:61], s[6:7], -v[42:43]
	v_add_f64 v[46:47], v[46:47], v[28:29]
	v_fma_f64 v[123:124], v[44:45], s[18:19], v[89:90]
	v_fma_f64 v[89:90], v[44:45], s[18:19], -v[89:90]
	v_fma_f64 v[125:126], v[44:45], s[22:23], v[91:92]
	v_fma_f64 v[91:92], v[44:45], s[22:23], -v[91:92]
	;; [unrolled: 2-line block ×3, first 2 shown]
	v_fma_f64 v[129:130], v[44:45], s[6:7], v[64:65]
	v_add_f64 v[38:39], v[68:69], v[38:39]
	v_fma_f64 v[117:118], v[60:61], s[12:13], v[83:84]
	v_fma_f64 v[121:122], v[60:61], s[22:23], v[58:59]
	v_fma_f64 v[58:59], v[60:61], s[22:23], -v[58:59]
	v_fma_f64 v[83:84], v[60:61], s[12:13], -v[83:84]
	v_mul_f64 v[68:69], v[66:67], s[34:35]
	v_mul_f64 v[66:67], v[66:67], s[26:27]
	v_fma_f64 v[60:61], v[44:45], s[10:11], v[87:88]
	v_fma_f64 v[87:88], v[44:45], s[10:11], -v[87:88]
	v_fma_f64 v[44:45], v[44:45], s[6:7], -v[64:65]
	v_add_f64 v[64:65], v[74:75], v[113:114]
	v_add_f64 v[113:114], v[74:75], v[115:116]
	;; [unrolled: 1-line block ×5, first 2 shown]
	v_fma_f64 v[131:132], v[46:47], s[10:11], v[97:98]
	v_fma_f64 v[97:98], v[46:47], s[10:11], -v[97:98]
	v_fma_f64 v[133:134], v[46:47], s[6:7], v[99:100]
	v_fma_f64 v[99:100], v[46:47], s[6:7], -v[99:100]
	v_add_f64 v[36:37], v[38:39], v[36:37]
	v_add_f64 v[115:116], v[74:75], v[117:118]
	;; [unrolled: 1-line block ×6, first 2 shown]
	v_fma_f64 v[74:75], v[46:47], s[12:13], v[95:96]
	v_fma_f64 v[95:96], v[46:47], s[12:13], -v[95:96]
	v_fma_f64 v[121:122], v[46:47], s[22:23], v[68:69]
	v_fma_f64 v[68:69], v[46:47], s[22:23], -v[68:69]
	;; [unrolled: 2-line block ×3, first 2 shown]
	v_add_f64 v[60:61], v[60:61], v[64:65]
	v_add_f64 v[64:65], v[123:124], v[113:114]
	;; [unrolled: 1-line block ×5, first 2 shown]
	v_mul_f64 v[38:39], v[40:41], s[26:27]
	v_fma_f64 v[87:88], v[62:63], s[12:13], v[103:104]
	v_fma_f64 v[113:114], v[62:63], s[10:11], v[50:51]
	v_fma_f64 v[50:51], v[62:63], s[10:11], -v[50:51]
	v_add_f64 v[34:35], v[36:37], v[34:35]
	v_add_f64 v[72:73], v[125:126], v[115:116]
	;; [unrolled: 1-line block ×6, first 2 shown]
	v_mul_f64 v[36:37], v[40:41], s[30:31]
	v_fma_f64 v[83:84], v[62:63], s[18:19], -v[101:102]
	v_fma_f64 v[91:92], v[62:63], s[12:13], -v[103:104]
	;; [unrolled: 1-line block ×3, first 2 shown]
	v_add_f64 v[60:61], v[74:75], v[60:61]
	v_add_f64 v[42:43], v[95:96], v[42:43]
	;; [unrolled: 1-line block ×3, first 2 shown]
	v_mul_f64 v[34:35], v[40:41], s[16:17]
	v_fma_f64 v[40:41], v[62:63], s[18:19], v[101:102]
	v_fma_f64 v[101:102], v[62:63], s[6:7], v[105:106]
	;; [unrolled: 1-line block ×3, first 2 shown]
	v_fma_f64 v[107:108], v[62:63], s[22:23], -v[107:108]
	v_add_f64 v[62:63], v[121:122], v[64:65]
	v_add_f64 v[64:65], v[68:69], v[66:67]
	;; [unrolled: 1-line block ×8, first 2 shown]
	v_fma_f64 v[85:86], v[70:71], s[6:7], v[111:112]
	v_fma_f64 v[89:90], v[70:71], s[6:7], -v[111:112]
	v_fma_f64 v[93:94], v[70:71], s[18:19], v[38:39]
	v_fma_f64 v[58:59], v[70:71], s[22:23], -v[109:110]
	v_fma_f64 v[38:39], v[70:71], s[18:19], -v[38:39]
	v_fma_f64 v[95:96], v[70:71], s[10:11], v[36:37]
	v_fma_f64 v[36:37], v[70:71], s[10:11], -v[36:37]
	v_add_f64 v[42:43], v[83:84], v[42:43]
	v_add_f64 v[28:29], v[30:31], v[28:29]
	v_fma_f64 v[30:31], v[70:71], s[22:23], v[109:110]
	v_add_f64 v[40:41], v[40:41], v[60:61]
	v_fma_f64 v[97:98], v[70:71], s[12:13], v[34:35]
	v_fma_f64 v[34:35], v[70:71], s[12:13], -v[34:35]
	v_add_f64 v[60:61], v[87:88], v[62:63]
	v_add_f64 v[62:63], v[91:92], v[64:65]
	;; [unrolled: 1-line block ×20, first 2 shown]
	ds_write2_b64 v82, v[60:61], v[62:63] offset0:44 offset1:66
	ds_write2_b64 v82, v[64:65], v[36:37] offset0:88 offset1:110
	;; [unrolled: 1-line block ×4, first 2 shown]
	ds_write_b64 v82, v[4:5] offset:1760
	ds_write2_b64 v82, v[32:33], v[40:41] offset1:22
	s_waitcnt lgkmcnt(0)
	s_barrier
	buffer_gl0_inv
	ds_read2_b64 v[36:39], v81 offset1:242
	ds_read2_b64 v[40:43], v76 offset0:4 offset1:246
	ds_read2_b64 v[44:47], v77 offset0:8 offset1:250
	ds_read_b64 v[58:59], v81 offset:11616
                                        ; implicit-def: $vgpr34_vgpr35
	s_and_saveexec_b32 s1, s0
	s_cbranch_execz .LBB0_25
; %bb.24:
	v_add_nc_u32_e32 v4, 0xc00, v81
	v_add_nc_u32_e32 v5, 0x1b80, v81
	;; [unrolled: 1-line block ×3, first 2 shown]
	ds_read_b64 v[50:51], v80
	ds_read2_b64 v[28:31], v4 offset0:12 offset1:254
	ds_read2_b64 v[4:7], v5 offset1:242
	ds_read2_b64 v[32:35], v32 offset0:4 offset1:246
.LBB0_25:
	s_or_b32 exec_lo, exec_lo, s1
	s_and_saveexec_b32 s1, vcc_lo
	s_cbranch_execz .LBB0_28
; %bb.26:
	v_mul_u32_u24_e32 v60, 6, v78
	v_mul_lo_u32 v98, s5, v54
	v_mul_lo_u32 v55, s4, v55
	v_lshrrev_b32_e32 v96, 1, v78
	s_mov_b32 s10, 0xe976ee23
	v_lshlrev_b32_e32 v60, 4, v60
	s_mov_b32 s18, 0x37e14327
	s_mov_b32 s11, 0xbfe11646
	v_mul_hi_u32 v102, 0x43b3d5b, v96
	v_lshlrev_b64 v[96:97], 4, v[52:53]
	v_add_co_u32 v60, s1, s8, v60
	v_add_co_ci_u32_e64 v61, null, s9, 0, s1
	s_mov_b32 s12, 0x36b3c0b5
	v_add_co_u32 v76, vcc_lo, 0xe70, v60
	v_add_co_ci_u32_e32 v77, vcc_lo, 0, v61, vcc_lo
	v_add_co_u32 v68, vcc_lo, 0x800, v60
	v_add_co_ci_u32_e32 v69, vcc_lo, 0, v61, vcc_lo
	;; [unrolled: 2-line block ×3, first 2 shown]
	s_clause 0x5
	global_load_dwordx4 v[60:63], v[76:77], off offset:16
	global_load_dwordx4 v[64:67], v[68:69], off offset:1712
	;; [unrolled: 1-line block ×6, first 2 shown]
	v_mad_u64_u32 v[76:77], null, s4, v54, 0
	v_lshrrev_b32_e32 v53, 1, v102
	v_mov_b32_e32 v54, 0
	s_mov_b32 s19, 0x3fe948f6
	s_mov_b32 s20, 0x429ad128
	;; [unrolled: 1-line block ×3, first 2 shown]
	v_mul_lo_u32 v53, 0xf2, v53
	v_add3_u32 v77, v77, v55, v98
	s_mov_b32 s21, 0x3febfeb5
	s_mov_b32 s6, 0xb247c609
	;; [unrolled: 1-line block ×13, first 2 shown]
	v_add_nc_u32_e32 v52, 0x9a, v78
	v_cmp_gt_u32_e32 vcc_lo, 0xf2, v52
	s_waitcnt vmcnt(5) lgkmcnt(2)
	v_mul_f64 v[88:89], v[40:41], v[62:63]
	s_waitcnt vmcnt(4) lgkmcnt(1)
	v_mul_f64 v[90:91], v[46:47], v[66:67]
	v_mul_f64 v[62:63], v[20:21], v[62:63]
	;; [unrolled: 1-line block ×3, first 2 shown]
	s_waitcnt vmcnt(3)
	v_mul_f64 v[92:93], v[18:19], v[70:71]
	s_waitcnt vmcnt(2)
	v_mul_f64 v[94:95], v[56:57], v[74:75]
	v_mul_f64 v[70:71], v[38:39], v[70:71]
	s_waitcnt lgkmcnt(0)
	v_mul_f64 v[74:75], v[58:59], v[74:75]
	s_waitcnt vmcnt(1)
	v_mul_f64 v[98:99], v[44:45], v[82:83]
	s_waitcnt vmcnt(0)
	v_mul_f64 v[100:101], v[42:43], v[86:87]
	v_mul_f64 v[86:87], v[22:23], v[86:87]
	;; [unrolled: 1-line block ×3, first 2 shown]
	v_fma_f64 v[20:21], v[20:21], v[60:61], -v[88:89]
	v_fma_f64 v[26:27], v[26:27], v[64:65], -v[90:91]
	v_fma_f64 v[40:41], v[40:41], v[60:61], v[62:63]
	v_fma_f64 v[46:47], v[46:47], v[64:65], v[66:67]
	;; [unrolled: 1-line block ×4, first 2 shown]
	v_fma_f64 v[60:61], v[18:19], v[68:69], -v[70:71]
	v_fma_f64 v[55:56], v[56:57], v[72:73], -v[74:75]
	;; [unrolled: 1-line block ×4, first 2 shown]
	v_fma_f64 v[42:43], v[42:43], v[84:85], v[86:87]
	v_fma_f64 v[44:45], v[44:45], v[80:81], v[82:83]
	v_lshlrev_b64 v[18:19], 4, v[76:77]
	v_sub_nc_u32_e32 v82, v78, v53
	v_mad_u64_u32 v[70:71], null, s2, v82, 0
	v_add_nc_u32_e32 v93, 0xf2, v82
	v_add_co_u32 v18, s1, s14, v18
	v_add_f64 v[66:67], v[20:21], v[26:27]
	v_add_f64 v[20:21], v[20:21], -v[26:27]
	v_add_f64 v[62:63], v[40:41], v[46:47]
	v_add_f64 v[40:41], v[40:41], -v[46:47]
	;; [unrolled: 2-line block ×4, first 2 shown]
	v_add_f64 v[76:77], v[24:25], -v[22:23]
	v_add_f64 v[22:23], v[24:25], v[22:23]
	v_add_f64 v[55:56], v[44:45], v[42:43]
	v_add_f64 v[24:25], v[44:45], -v[42:43]
	v_mad_u64_u32 v[72:73], null, s2, v93, 0
	v_mov_b32_e32 v53, v71
	v_add_nc_u32_e32 v98, 0x1e4, v82
	v_add_nc_u32_e32 v100, 0x2d6, v82
	;; [unrolled: 1-line block ×5, first 2 shown]
	v_mad_u64_u32 v[82:83], null, s3, v82, v[53:54]
	v_mov_b32_e32 v53, v73
	v_add_co_ci_u32_e64 v19, s1, s15, v19, s1
	v_add_co_u32 v18, s1, v18, v96
	v_add_f64 v[44:45], v[62:63], v[64:65]
	v_add_f64 v[46:47], v[66:67], v[68:69]
	v_mad_u64_u32 v[93:94], null, s3, v93, v[53:54]
	v_add_f64 v[83:84], v[76:77], -v[20:21]
	v_add_f64 v[85:86], v[64:65], -v[55:56]
	v_add_f64 v[87:88], v[68:69], -v[22:23]
	v_add_f64 v[89:90], v[24:25], -v[40:41]
	v_add_f64 v[91:92], v[20:21], -v[26:27]
	v_add_f64 v[94:95], v[40:41], -v[38:39]
	v_add_co_ci_u32_e64 v19, s1, v19, v97, s1
	v_add_f64 v[96:97], v[22:23], -v[66:67]
	v_mad_u64_u32 v[74:75], null, s2, v98, 0
	v_mad_u64_u32 v[60:61], null, s2, v104, 0
	;; [unrolled: 1-line block ×3, first 2 shown]
	v_add_f64 v[40:41], v[24:25], v[40:41]
	v_add_f64 v[24:25], v[38:39], -v[24:25]
	v_mov_b32_e32 v59, v75
	v_add_f64 v[44:45], v[55:56], v[44:45]
	v_add_f64 v[46:47], v[22:23], v[46:47]
	v_add_f64 v[55:56], v[55:56], -v[62:63]
	v_add_f64 v[62:63], v[62:63], -v[64:65]
	v_mad_u64_u32 v[98:99], null, s3, v98, v[59:60]
	v_mul_f64 v[83:84], v[83:84], s[10:11]
	v_mul_f64 v[85:86], v[85:86], s[18:19]
	;; [unrolled: 1-line block ×6, first 2 shown]
	v_add_f64 v[66:67], v[66:67], -v[68:69]
	v_mul_f64 v[68:69], v[96:97], s[12:13]
	v_mad_u64_u32 v[80:81], null, s2, v106, 0
	v_mov_b32_e32 v71, v82
	v_mad_u64_u32 v[57:58], null, s2, v105, 0
	v_lshlrev_b64 v[70:71], 4, v[70:71]
	v_mad_u64_u32 v[99:100], null, s3, v100, v[43:44]
	v_add_f64 v[100:101], v[76:77], v[20:21]
	v_add_f64 v[75:76], v[26:27], -v[76:77]
	v_add_f64 v[22:23], v[36:37], v[44:45]
	v_add_f64 v[20:21], v[16:17], v[46:47]
	v_mul_f64 v[16:17], v[55:56], s[12:13]
	v_mov_b32_e32 v73, v81
	v_mad_u64_u32 v[36:37], null, s3, v104, v[61:62]
	v_add_f64 v[37:38], v[40:41], v[38:39]
	v_fma_f64 v[55:56], v[55:56], s[12:13], v[85:86]
	v_mad_u64_u32 v[81:82], null, s3, v106, v[73:74]
	v_fma_f64 v[96:97], v[96:97], s[12:13], v[87:88]
	v_mad_u64_u32 v[58:59], null, s3, v105, v[58:59]
	v_mov_b32_e32 v61, v36
	v_mov_b32_e32 v73, v93
	;; [unrolled: 1-line block ×3, first 2 shown]
	v_add_co_u32 v70, s1, v18, v70
	v_add_co_ci_u32_e64 v71, s1, v19, v71, s1
	v_add_f64 v[26:27], v[100:101], v[26:27]
	v_fma_f64 v[39:40], v[75:76], s[6:7], v[83:84]
	v_fma_f64 v[100:101], v[24:25], s[6:7], v[89:90]
	;; [unrolled: 1-line block ×4, first 2 shown]
	v_fma_f64 v[76:77], v[75:76], s[26:27], -v[102:103]
	v_fma_f64 v[82:83], v[91:92], s[20:21], -v[83:84]
	;; [unrolled: 1-line block ×8, first 2 shown]
	v_lshlrev_b64 v[86:87], 4, v[60:61]
	v_mov_b32_e32 v75, v98
	v_lshlrev_b64 v[68:69], 4, v[72:73]
	v_lshlrev_b64 v[90:91], 4, v[57:58]
	v_lshlrev_b64 v[80:81], 4, v[80:81]
	v_lshlrev_b64 v[72:73], 4, v[74:75]
	v_lshlrev_b64 v[74:75], 4, v[42:43]
	v_fma_f64 v[40:41], v[26:27], s[4:5], v[39:40]
	v_fma_f64 v[59:60], v[37:38], s[4:5], v[100:101]
	v_add_f64 v[55:56], v[55:56], v[44:45]
	v_add_f64 v[88:89], v[96:97], v[46:47]
	v_fma_f64 v[76:77], v[26:27], s[4:5], v[76:77]
	v_fma_f64 v[82:83], v[26:27], s[4:5], v[82:83]
	v_add_f64 v[84:85], v[84:85], v[44:45]
	v_add_f64 v[16:17], v[16:17], v[44:45]
	;; [unrolled: 4-line block ×3, first 2 shown]
	v_add_co_u32 v67, s1, v18, v68
	v_add_co_ci_u32_e64 v68, s1, v19, v69, s1
	v_add_co_u32 v72, s1, v18, v72
	v_add_co_ci_u32_e64 v73, s1, v19, v73, s1
	v_add_f64 v[61:62], v[55:56], -v[40:41]
	v_add_f64 v[24:25], v[88:89], -v[59:60]
	v_add_f64 v[59:60], v[59:60], v[88:89]
	v_add_f64 v[26:27], v[40:41], v[55:56]
	v_add_f64 v[57:58], v[84:85], -v[76:77]
	v_add_f64 v[46:47], v[82:83], v[16:17]
	v_add_f64 v[42:43], v[16:17], -v[82:83]
	v_add_f64 v[38:39], v[76:77], v[84:85]
	v_add_f64 v[55:56], v[92:93], v[63:64]
	v_add_f64 v[44:45], v[65:66], -v[36:37]
	v_add_f64 v[40:41], v[36:37], v[65:66]
	v_add_f64 v[36:37], v[63:64], -v[92:93]
	v_add_co_u32 v16, s1, v18, v74
	v_add_co_ci_u32_e64 v17, s1, v19, v75, s1
	v_add_co_u32 v63, s1, v18, v86
	v_add_co_ci_u32_e64 v64, s1, v19, v87, s1
	;; [unrolled: 2-line block ×4, first 2 shown]
	global_store_dwordx4 v[70:71], v[20:23], off
	global_store_dwordx4 v[67:68], v[59:62], off
	;; [unrolled: 1-line block ×7, first 2 shown]
	s_and_b32 exec_lo, exec_lo, vcc_lo
	s_cbranch_execz .LBB0_28
; %bb.27:
	v_add_nc_u32_e32 v16, 0xffffffa8, v78
	v_add_nc_u32_e32 v68, 0x370, v78
	;; [unrolled: 1-line block ×5, first 2 shown]
	v_cndmask_b32_e64 v16, v16, v79, s0
	v_mul_i32_i24_e32 v53, 6, v16
	v_lshlrev_b64 v[16:17], 4, v[53:54]
	v_add_co_u32 v20, vcc_lo, s8, v16
	v_add_co_ci_u32_e32 v21, vcc_lo, s9, v17, vcc_lo
	v_add_co_u32 v16, vcc_lo, 0xe70, v20
	v_add_co_ci_u32_e32 v17, vcc_lo, 0, v21, vcc_lo
	;; [unrolled: 2-line block ×4, first 2 shown]
	s_clause 0x5
	global_load_dwordx4 v[20:23], v[40:41], off offset:1648
	global_load_dwordx4 v[24:27], v[16:17], off offset:16
	;; [unrolled: 1-line block ×6, first 2 shown]
	s_waitcnt vmcnt(5)
	v_mul_f64 v[16:17], v[28:29], v[22:23]
	v_mul_f64 v[22:23], v[8:9], v[22:23]
	s_waitcnt vmcnt(4)
	v_mul_f64 v[57:58], v[30:31], v[26:27]
	v_mul_f64 v[26:27], v[10:11], v[26:27]
	;; [unrolled: 3-line block ×6, first 2 shown]
	v_fma_f64 v[8:9], v[8:9], v[20:21], -v[16:17]
	v_fma_f64 v[16:17], v[28:29], v[20:21], v[22:23]
	v_fma_f64 v[10:11], v[10:11], v[24:25], -v[57:58]
	v_fma_f64 v[20:21], v[30:31], v[24:25], v[26:27]
	;; [unrolled: 2-line block ×6, first 2 shown]
	v_mad_u64_u32 v[26:27], null, s2, v52, 0
	v_add_nc_u32_e32 v47, 0x18c, v78
	v_add_nc_u32_e32 v64, 0x27e, v78
	v_mad_u64_u32 v[38:39], null, s2, v71, 0
	v_mad_u64_u32 v[40:41], null, s2, v72, 0
	;; [unrolled: 1-line block ×4, first 2 shown]
	v_add_f64 v[28:29], v[8:9], v[14:15]
	v_add_f64 v[30:31], v[16:17], v[22:23]
	;; [unrolled: 1-line block ×4, first 2 shown]
	v_add_f64 v[10:11], v[10:11], -v[12:13]
	v_add_f64 v[12:13], v[20:21], -v[24:25]
	v_add_f64 v[20:21], v[0:1], v[2:3]
	v_add_f64 v[24:25], v[4:5], v[6:7]
	v_add_f64 v[0:1], v[2:3], -v[0:1]
	v_add_f64 v[2:3], v[6:7], -v[4:5]
	v_add_f64 v[8:9], v[8:9], -v[14:15]
	v_add_f64 v[14:15], v[16:17], -v[22:23]
	v_mad_u64_u32 v[4:5], null, s2, v64, 0
	v_mad_u64_u32 v[6:7], null, s2, v68, 0
	v_mad_u64_u32 v[44:45], null, s3, v52, v[27:28]
	v_add_f64 v[16:17], v[32:33], v[28:29]
	v_add_f64 v[22:23], v[34:35], v[30:31]
	v_mov_b32_e32 v27, v37
	v_mov_b32_e32 v37, v39
	v_add_f64 v[45:46], v[28:29], -v[20:21]
	v_add_f64 v[52:53], v[30:31], -v[24:25]
	;; [unrolled: 1-line block ×6, first 2 shown]
	v_mad_u64_u32 v[62:63], null, s3, v47, v[27:28]
	v_mad_u64_u32 v[63:64], null, s3, v64, v[5:6]
	v_add_f64 v[10:11], v[0:1], v[10:11]
	v_add_f64 v[12:13], v[2:3], v[12:13]
	v_add_f64 v[64:65], v[8:9], -v[0:1]
	v_add_f64 v[66:67], v[14:15], -v[2:3]
	v_mad_u64_u32 v[68:69], null, s3, v68, v[7:8]
	v_add_f64 v[28:29], v[32:33], -v[28:29]
	v_add_f64 v[30:31], v[34:35], -v[30:31]
	v_add_f64 v[16:17], v[20:21], v[16:17]
	v_add_f64 v[22:23], v[24:25], v[22:23]
	v_add_f64 v[20:21], v[20:21], -v[32:33]
	v_add_f64 v[24:25], v[24:25], -v[34:35]
	v_mul_f64 v[45:46], v[45:46], s[18:19]
	v_mul_f64 v[52:53], v[52:53], s[18:19]
	;; [unrolled: 1-line block ×6, first 2 shown]
	v_mov_b32_e32 v39, v41
	v_mov_b32_e32 v27, v44
	;; [unrolled: 1-line block ×4, first 2 shown]
	v_add_f64 v[8:9], v[10:11], v[8:9]
	v_add_f64 v[10:11], v[12:13], v[14:15]
	v_lshlrev_b64 v[26:27], 4, v[26:27]
	v_mov_b32_e32 v7, v68
	v_lshlrev_b64 v[4:5], 4, v[4:5]
	v_add_f64 v[0:1], v[48:49], v[16:17]
	v_add_f64 v[2:3], v[50:51], v[22:23]
	v_mul_f64 v[34:35], v[20:21], s[12:13]
	v_mul_f64 v[47:48], v[24:25], s[12:13]
	v_mad_u64_u32 v[49:50], null, s3, v71, v[37:38]
	v_mad_u64_u32 v[50:51], null, s3, v72, v[39:40]
	v_fma_f64 v[12:13], v[20:21], s[12:13], v[45:46]
	v_fma_f64 v[14:15], v[24:25], s[12:13], v[52:53]
	;; [unrolled: 1-line block ×4, first 2 shown]
	v_fma_f64 v[54:55], v[58:59], s[20:21], -v[54:55]
	v_fma_f64 v[56:57], v[60:61], s[20:21], -v[56:57]
	;; [unrolled: 1-line block ×6, first 2 shown]
	v_mov_b32_e32 v37, v62
	v_mad_u64_u32 v[71:72], null, s3, v73, v[41:42]
	v_mov_b32_e32 v39, v49
	v_fma_f64 v[16:17], v[16:17], s[16:17], v[0:1]
	v_fma_f64 v[22:23], v[22:23], s[16:17], v[2:3]
	v_fma_f64 v[28:29], v[28:29], s[22:23], -v[34:35]
	v_fma_f64 v[30:31], v[30:31], s[22:23], -v[47:48]
	v_lshlrev_b64 v[34:35], 4, v[36:37]
	v_mov_b32_e32 v41, v50
	v_lshlrev_b64 v[38:39], 4, v[38:39]
	v_mov_b32_e32 v43, v71
	v_fma_f64 v[36:37], v[8:9], s[4:5], v[20:21]
	v_fma_f64 v[46:47], v[10:11], s[4:5], v[24:25]
	;; [unrolled: 1-line block ×6, first 2 shown]
	v_add_co_u32 v59, vcc_lo, v18, v26
	v_add_co_ci_u32_e32 v60, vcc_lo, v19, v27, vcc_lo
	v_add_co_u32 v34, vcc_lo, v18, v34
	v_add_f64 v[53:54], v[12:13], v[16:17]
	v_add_f64 v[55:56], v[14:15], v[22:23]
	;; [unrolled: 1-line block ×6, first 2 shown]
	v_add_co_ci_u32_e32 v35, vcc_lo, v19, v35, vcc_lo
	v_add_co_u32 v61, vcc_lo, v18, v4
	v_lshlrev_b64 v[57:58], 4, v[6:7]
	v_add_co_ci_u32_e32 v62, vcc_lo, v19, v5, vcc_lo
	v_lshlrev_b64 v[40:41], 4, v[40:41]
	v_lshlrev_b64 v[42:43], 4, v[42:43]
	v_add_f64 v[4:5], v[46:47], v[53:54]
	v_add_f64 v[6:7], v[55:56], -v[36:37]
	v_add_f64 v[8:9], v[48:49], v[44:45]
	v_add_f64 v[10:11], v[50:51], -v[32:33]
	v_add_f64 v[12:13], v[16:17], -v[20:21]
	v_add_f64 v[14:15], v[24:25], v[22:23]
	v_add_f64 v[20:21], v[20:21], v[16:17]
	v_add_f64 v[22:23], v[22:23], -v[24:25]
	v_add_f64 v[24:25], v[44:45], -v[48:49]
	v_add_f64 v[26:27], v[32:33], v[50:51]
	v_add_f64 v[28:29], v[53:54], -v[46:47]
	v_add_f64 v[30:31], v[36:37], v[55:56]
	v_add_co_u32 v16, vcc_lo, v18, v57
	v_add_co_ci_u32_e32 v17, vcc_lo, v19, v58, vcc_lo
	v_add_co_u32 v32, vcc_lo, v18, v38
	v_add_co_ci_u32_e32 v33, vcc_lo, v19, v39, vcc_lo
	;; [unrolled: 2-line block ×4, first 2 shown]
	global_store_dwordx4 v[59:60], v[0:3], off
	global_store_dwordx4 v[34:35], v[4:7], off
	;; [unrolled: 1-line block ×7, first 2 shown]
.LBB0_28:
	s_endpgm
	.section	.rodata,"a",@progbits
	.p2align	6, 0x0
	.amdhsa_kernel fft_rtc_fwd_len1694_factors_11_2_11_7_wgs_154_tpt_154_halfLds_dp_op_CI_CI_sbrr_dirReg
		.amdhsa_group_segment_fixed_size 0
		.amdhsa_private_segment_fixed_size 0
		.amdhsa_kernarg_size 104
		.amdhsa_user_sgpr_count 6
		.amdhsa_user_sgpr_private_segment_buffer 1
		.amdhsa_user_sgpr_dispatch_ptr 0
		.amdhsa_user_sgpr_queue_ptr 0
		.amdhsa_user_sgpr_kernarg_segment_ptr 1
		.amdhsa_user_sgpr_dispatch_id 0
		.amdhsa_user_sgpr_flat_scratch_init 0
		.amdhsa_user_sgpr_private_segment_size 0
		.amdhsa_wavefront_size32 1
		.amdhsa_uses_dynamic_stack 0
		.amdhsa_system_sgpr_private_segment_wavefront_offset 0
		.amdhsa_system_sgpr_workgroup_id_x 1
		.amdhsa_system_sgpr_workgroup_id_y 0
		.amdhsa_system_sgpr_workgroup_id_z 0
		.amdhsa_system_sgpr_workgroup_info 0
		.amdhsa_system_vgpr_workitem_id 0
		.amdhsa_next_free_vgpr 142
		.amdhsa_next_free_sgpr 40
		.amdhsa_reserve_vcc 1
		.amdhsa_reserve_flat_scratch 0
		.amdhsa_float_round_mode_32 0
		.amdhsa_float_round_mode_16_64 0
		.amdhsa_float_denorm_mode_32 3
		.amdhsa_float_denorm_mode_16_64 3
		.amdhsa_dx10_clamp 1
		.amdhsa_ieee_mode 1
		.amdhsa_fp16_overflow 0
		.amdhsa_workgroup_processor_mode 1
		.amdhsa_memory_ordered 1
		.amdhsa_forward_progress 0
		.amdhsa_shared_vgpr_count 0
		.amdhsa_exception_fp_ieee_invalid_op 0
		.amdhsa_exception_fp_denorm_src 0
		.amdhsa_exception_fp_ieee_div_zero 0
		.amdhsa_exception_fp_ieee_overflow 0
		.amdhsa_exception_fp_ieee_underflow 0
		.amdhsa_exception_fp_ieee_inexact 0
		.amdhsa_exception_int_div_zero 0
	.end_amdhsa_kernel
	.text
.Lfunc_end0:
	.size	fft_rtc_fwd_len1694_factors_11_2_11_7_wgs_154_tpt_154_halfLds_dp_op_CI_CI_sbrr_dirReg, .Lfunc_end0-fft_rtc_fwd_len1694_factors_11_2_11_7_wgs_154_tpt_154_halfLds_dp_op_CI_CI_sbrr_dirReg
                                        ; -- End function
	.section	.AMDGPU.csdata,"",@progbits
; Kernel info:
; codeLenInByte = 12880
; NumSgprs: 42
; NumVgprs: 142
; ScratchSize: 0
; MemoryBound: 1
; FloatMode: 240
; IeeeMode: 1
; LDSByteSize: 0 bytes/workgroup (compile time only)
; SGPRBlocks: 5
; VGPRBlocks: 17
; NumSGPRsForWavesPerEU: 42
; NumVGPRsForWavesPerEU: 142
; Occupancy: 7
; WaveLimiterHint : 1
; COMPUTE_PGM_RSRC2:SCRATCH_EN: 0
; COMPUTE_PGM_RSRC2:USER_SGPR: 6
; COMPUTE_PGM_RSRC2:TRAP_HANDLER: 0
; COMPUTE_PGM_RSRC2:TGID_X_EN: 1
; COMPUTE_PGM_RSRC2:TGID_Y_EN: 0
; COMPUTE_PGM_RSRC2:TGID_Z_EN: 0
; COMPUTE_PGM_RSRC2:TIDIG_COMP_CNT: 0
	.text
	.p2alignl 6, 3214868480
	.fill 48, 4, 3214868480
	.type	__hip_cuid_4c4bdc0c5dc786dd,@object ; @__hip_cuid_4c4bdc0c5dc786dd
	.section	.bss,"aw",@nobits
	.globl	__hip_cuid_4c4bdc0c5dc786dd
__hip_cuid_4c4bdc0c5dc786dd:
	.byte	0                               ; 0x0
	.size	__hip_cuid_4c4bdc0c5dc786dd, 1

	.ident	"AMD clang version 19.0.0git (https://github.com/RadeonOpenCompute/llvm-project roc-6.4.0 25133 c7fe45cf4b819c5991fe208aaa96edf142730f1d)"
	.section	".note.GNU-stack","",@progbits
	.addrsig
	.addrsig_sym __hip_cuid_4c4bdc0c5dc786dd
	.amdgpu_metadata
---
amdhsa.kernels:
  - .args:
      - .actual_access:  read_only
        .address_space:  global
        .offset:         0
        .size:           8
        .value_kind:     global_buffer
      - .offset:         8
        .size:           8
        .value_kind:     by_value
      - .actual_access:  read_only
        .address_space:  global
        .offset:         16
        .size:           8
        .value_kind:     global_buffer
      - .actual_access:  read_only
        .address_space:  global
        .offset:         24
        .size:           8
        .value_kind:     global_buffer
      - .actual_access:  read_only
        .address_space:  global
        .offset:         32
        .size:           8
        .value_kind:     global_buffer
      - .offset:         40
        .size:           8
        .value_kind:     by_value
      - .actual_access:  read_only
        .address_space:  global
        .offset:         48
        .size:           8
        .value_kind:     global_buffer
      - .actual_access:  read_only
        .address_space:  global
        .offset:         56
        .size:           8
        .value_kind:     global_buffer
      - .offset:         64
        .size:           4
        .value_kind:     by_value
      - .actual_access:  read_only
        .address_space:  global
        .offset:         72
        .size:           8
        .value_kind:     global_buffer
      - .actual_access:  read_only
        .address_space:  global
        .offset:         80
        .size:           8
        .value_kind:     global_buffer
      - .actual_access:  read_only
        .address_space:  global
        .offset:         88
        .size:           8
        .value_kind:     global_buffer
      - .actual_access:  write_only
        .address_space:  global
        .offset:         96
        .size:           8
        .value_kind:     global_buffer
    .group_segment_fixed_size: 0
    .kernarg_segment_align: 8
    .kernarg_segment_size: 104
    .language:       OpenCL C
    .language_version:
      - 2
      - 0
    .max_flat_workgroup_size: 154
    .name:           fft_rtc_fwd_len1694_factors_11_2_11_7_wgs_154_tpt_154_halfLds_dp_op_CI_CI_sbrr_dirReg
    .private_segment_fixed_size: 0
    .sgpr_count:     42
    .sgpr_spill_count: 0
    .symbol:         fft_rtc_fwd_len1694_factors_11_2_11_7_wgs_154_tpt_154_halfLds_dp_op_CI_CI_sbrr_dirReg.kd
    .uniform_work_group_size: 1
    .uses_dynamic_stack: false
    .vgpr_count:     142
    .vgpr_spill_count: 0
    .wavefront_size: 32
    .workgroup_processor_mode: 1
amdhsa.target:   amdgcn-amd-amdhsa--gfx1030
amdhsa.version:
  - 1
  - 2
...

	.end_amdgpu_metadata
